;; amdgpu-corpus repo=ROCm/rocFFT kind=compiled arch=gfx906 opt=O3
	.text
	.amdgcn_target "amdgcn-amd-amdhsa--gfx906"
	.amdhsa_code_object_version 6
	.protected	bluestein_single_back_len2560_dim1_half_op_CI_CI ; -- Begin function bluestein_single_back_len2560_dim1_half_op_CI_CI
	.globl	bluestein_single_back_len2560_dim1_half_op_CI_CI
	.p2align	8
	.type	bluestein_single_back_len2560_dim1_half_op_CI_CI,@function
bluestein_single_back_len2560_dim1_half_op_CI_CI: ; @bluestein_single_back_len2560_dim1_half_op_CI_CI
; %bb.0:
	s_load_dwordx4 s[16:19], s[4:5], 0x28
	s_mov_b32 s7, 0
	s_waitcnt lgkmcnt(0)
	v_mov_b32_e32 v1, s16
	v_mov_b32_e32 v2, s17
	v_cmp_lt_u64_e32 vcc, s[6:7], v[1:2]
	s_and_saveexec_b64 s[0:1], vcc
	s_cbranch_execz .LBB0_2
; %bb.1:
	s_load_dwordx4 s[8:11], s[4:5], 0x18
	s_load_dwordx4 s[0:3], s[4:5], 0x0
	v_mov_b32_e32 v31, s7
	v_mov_b32_e32 v30, s6
	;; [unrolled: 1-line block ×3, first 2 shown]
	s_waitcnt lgkmcnt(0)
	s_load_dwordx4 s[12:15], s[8:9], 0x0
	v_lshlrev_b32_e32 v33, 2, v0
	global_load_dword v51, v33, s[0:1]
	global_load_dword v50, v33, s[0:1] offset:2560
	v_or_b32_e32 v56, 0x1400, v33
	s_waitcnt lgkmcnt(0)
	v_mad_u64_u32 v[1:2], s[6:7], s14, v30, 0
	v_mad_u64_u32 v[3:4], s[6:7], s12, v0, 0
	s_mul_i32 s8, s13, 0xa00
	s_mul_hi_u32 s14, s12, 0xa00
	v_mad_u64_u32 v[5:6], s[6:7], s15, v30, v[2:3]
	s_mul_i32 s15, s12, 0xa00
	s_mul_hi_u32 s9, s12, 0xffffe400
	v_mad_u64_u32 v[6:7], s[6:7], s13, v0, v[4:5]
	v_mov_b32_e32 v2, v5
	v_lshlrev_b64 v[1:2], 2, v[1:2]
	v_mov_b32_e32 v4, v6
	v_add_co_u32_e32 v5, vcc, s18, v1
	v_addc_co_u32_e32 v6, vcc, v8, v2, vcc
	v_lshlrev_b64 v[1:2], 2, v[3:4]
	s_add_u32 s6, s0, 0x2800
	v_add_co_u32_e32 v1, vcc, v5, v1
	s_addc_u32 s7, s1, 0
	v_addc_co_u32_e32 v2, vcc, v6, v2, vcc
	s_add_i32 s14, s14, s8
	global_load_dword v5, v[1:2], off
	v_mov_b32_e32 v3, s14
	v_add_co_u32_e32 v1, vcc, s15, v1
	v_addc_co_u32_e32 v2, vcc, v2, v3, vcc
	v_mov_b32_e32 v4, s14
	v_add_co_u32_e32 v3, vcc, s15, v1
	v_addc_co_u32_e32 v4, vcc, v2, v4, vcc
	global_load_dword v6, v[1:2], off
	global_load_dword v7, v[3:4], off
	global_load_dword v49, v56, s[0:1]
	v_mov_b32_e32 v2, s14
	v_add_co_u32_e32 v1, vcc, s15, v3
	v_addc_co_u32_e32 v2, vcc, v4, v2, vcc
	global_load_dword v3, v[1:2], off
	v_or_b32_e32 v55, 0x1e00, v33
	global_load_dword v48, v55, s[0:1]
	s_mul_i32 s8, s13, 0xffffe400
	s_sub_i32 s13, s9, s12
	s_add_i32 s13, s13, s8
	s_mulk_i32 s12, 0xe400
	v_mov_b32_e32 v4, s13
	v_add_co_u32_e32 v1, vcc, s12, v1
	v_addc_co_u32_e32 v2, vcc, v2, v4, vcc
	global_load_dword v4, v[1:2], off
	global_load_dword v47, v33, s[0:1] offset:512
	v_mov_b32_e32 v8, s14
	v_add_co_u32_e32 v1, vcc, s15, v1
	v_addc_co_u32_e32 v2, vcc, v2, v8, vcc
	global_load_dword v8, v[1:2], off
	global_load_dword v46, v33, s[0:1] offset:3072
	v_mov_b32_e32 v9, s14
	v_add_co_u32_e32 v1, vcc, s15, v1
	v_addc_co_u32_e32 v2, vcc, v2, v9, vcc
	global_load_dword v9, v[1:2], off
	v_or_b32_e32 v58, 0x1600, v33
	global_load_dword v44, v58, s[0:1]
	v_mov_b32_e32 v10, s14
	v_add_co_u32_e32 v1, vcc, s15, v1
	v_addc_co_u32_e32 v2, vcc, v2, v10, vcc
	global_load_dword v10, v[1:2], off
	s_load_dwordx4 s[8:11], s[10:11], 0x0
	global_load_dword v41, v33, s[0:1] offset:3584
	global_load_dword v43, v33, s[0:1] offset:1024
	;; [unrolled: 1-line block ×4, first 2 shown]
	v_or_b32_e32 v71, 0x2000, v33
	global_load_dword v45, v71, s[0:1]
	v_add_co_u32_e32 v1, vcc, s12, v1
	v_or_b32_e32 v72, 0x1800, v33
	global_load_dword v42, v72, s[0:1]
	v_or_b32_e32 v73, 0x2200, v33
	global_load_dword v40, v73, s[0:1]
	;; [unrolled: 2-line block ×4, first 2 shown]
	v_mov_b32_e32 v15, s14
	v_or_b32_e32 v59, 0x2400, v33
	global_load_dword v36, v59, s[0:1]
	v_mov_b32_e32 v16, s13
	v_mov_b32_e32 v17, s14
	v_or_b32_e32 v61, 0x1200, v33
	global_load_dword v35, v61, s[0:1]
	v_mov_b32_e32 v18, s14
	v_or_b32_e32 v62, 0x1c00, v33
	global_load_dword v32, v62, s[0:1]
	;; [unrolled: 3-line block ×3, first 2 shown]
	v_lshlrev_b32_e32 v54, 4, v0
	s_load_dwordx2 s[4:5], s[4:5], 0x38
	s_waitcnt vmcnt(25)
	v_lshrrev_b32_e32 v11, 16, v5
	v_mul_f16_sdwa v12, v51, v5 dst_sel:DWORD dst_unused:UNUSED_PAD src0_sel:WORD_1 src1_sel:DWORD
	v_mul_f16_sdwa v13, v51, v11 dst_sel:DWORD dst_unused:UNUSED_PAD src0_sel:WORD_1 src1_sel:DWORD
	v_fma_f16 v11, v51, v11, -v12
	v_fma_f16 v5, v51, v5, v13
	v_pack_b32_f16 v5, v5, v11
	s_waitcnt vmcnt(24)
	v_lshrrev_b32_e32 v12, 16, v6
	v_mul_f16_sdwa v14, v50, v6 dst_sel:DWORD dst_unused:UNUSED_PAD src0_sel:WORD_1 src1_sel:DWORD
	v_mul_f16_sdwa v13, v50, v12 dst_sel:DWORD dst_unused:UNUSED_PAD src0_sel:WORD_1 src1_sel:DWORD
	v_fma_f16 v12, v50, v12, -v14
	v_fma_f16 v6, v50, v6, v13
	s_waitcnt vmcnt(23)
	v_lshrrev_b32_e32 v11, 16, v7
	v_pack_b32_f16 v6, v6, v12
	s_waitcnt vmcnt(22)
	v_mul_f16_sdwa v12, v49, v11 dst_sel:DWORD dst_unused:UNUSED_PAD src0_sel:WORD_1 src1_sel:DWORD
	v_fma_f16 v12, v49, v7, v12
	v_mul_f16_sdwa v7, v49, v7 dst_sel:DWORD dst_unused:UNUSED_PAD src0_sel:WORD_1 src1_sel:DWORD
	v_fma_f16 v7, v49, v11, -v7
	s_waitcnt vmcnt(21)
	v_lshrrev_b32_e32 v11, 16, v3
	v_pack_b32_f16 v7, v12, v7
	s_waitcnt vmcnt(20)
	v_mul_f16_sdwa v12, v48, v11 dst_sel:DWORD dst_unused:UNUSED_PAD src0_sel:WORD_1 src1_sel:DWORD
	v_fma_f16 v12, v48, v3, v12
	v_mul_f16_sdwa v3, v48, v3 dst_sel:DWORD dst_unused:UNUSED_PAD src0_sel:WORD_1 src1_sel:DWORD
	v_fma_f16 v3, v48, v11, -v3
	v_pack_b32_f16 v3, v12, v3
	v_mov_b32_e32 v13, s14
	s_waitcnt vmcnt(19)
	v_lshrrev_b32_e32 v11, 16, v4
	s_waitcnt vmcnt(18)
	v_mul_f16_sdwa v12, v47, v11 dst_sel:DWORD dst_unused:UNUSED_PAD src0_sel:WORD_1 src1_sel:DWORD
	v_fma_f16 v12, v47, v4, v12
	v_mul_f16_sdwa v4, v47, v4 dst_sel:DWORD dst_unused:UNUSED_PAD src0_sel:WORD_1 src1_sel:DWORD
	v_fma_f16 v4, v47, v11, -v4
	v_pack_b32_f16 v4, v12, v4
	ds_write2st64_b32 v33, v5, v4 offset1:2
	s_waitcnt vmcnt(17)
	v_lshrrev_b32_e32 v4, 16, v8
	s_waitcnt vmcnt(16)
	v_mul_f16_sdwa v5, v46, v4 dst_sel:DWORD dst_unused:UNUSED_PAD src0_sel:WORD_1 src1_sel:DWORD
	v_fma_f16 v5, v46, v8, v5
	v_mul_f16_sdwa v8, v46, v8 dst_sel:DWORD dst_unused:UNUSED_PAD src0_sel:WORD_1 src1_sel:DWORD
	v_fma_f16 v4, v46, v4, -v8
	v_pack_b32_f16 v4, v5, v4
	s_waitcnt vmcnt(15)
	v_lshrrev_b32_e32 v5, 16, v9
	v_mov_b32_e32 v11, s14
	s_waitcnt vmcnt(14)
	v_mul_f16_sdwa v8, v44, v5 dst_sel:DWORD dst_unused:UNUSED_PAD src0_sel:WORD_1 src1_sel:DWORD
	v_fma_f16 v8, v44, v9, v8
	v_mul_f16_sdwa v9, v44, v9 dst_sel:DWORD dst_unused:UNUSED_PAD src0_sel:WORD_1 src1_sel:DWORD
	v_fma_f16 v5, v44, v5, -v9
	v_pack_b32_f16 v5, v8, v5
	ds_write2st64_b32 v33, v7, v5 offset0:20 offset1:22
	v_mov_b32_e32 v7, s13
	v_addc_co_u32_e32 v2, vcc, v2, v7, vcc
	global_load_dword v7, v[1:2], off
	v_mov_b32_e32 v8, s14
	v_add_co_u32_e32 v1, vcc, s15, v1
	v_addc_co_u32_e32 v2, vcc, v2, v8, vcc
	global_load_dword v8, v[1:2], off
	v_mov_b32_e32 v9, s14
	v_add_co_u32_e32 v1, vcc, s15, v1
	v_addc_co_u32_e32 v2, vcc, v2, v9, vcc
	global_load_dword v9, v[1:2], off
	v_add_co_u32_e32 v1, vcc, s15, v1
	v_addc_co_u32_e32 v2, vcc, v2, v11, vcc
	global_load_dword v11, v[1:2], off
	v_mov_b32_e32 v12, s13
	v_add_co_u32_e32 v1, vcc, s12, v1
	v_addc_co_u32_e32 v2, vcc, v2, v12, vcc
	global_load_dword v12, v[1:2], off
	;; [unrolled: 7-line block ×3, first 2 shown]
	v_add_co_u32_e32 v1, vcc, s15, v1
	v_addc_co_u32_e32 v2, vcc, v2, v15, vcc
	global_load_dword v15, v[1:2], off
	v_add_co_u32_e32 v1, vcc, s12, v1
	v_addc_co_u32_e32 v2, vcc, v2, v16, vcc
	global_load_dword v16, v[1:2], off
	;; [unrolled: 3-line block ×5, first 2 shown]
	s_waitcnt vmcnt(25)
	v_lshrrev_b32_e32 v5, 16, v10
	s_waitcnt vmcnt(20)
	v_mul_f16_sdwa v2, v45, v5 dst_sel:DWORD dst_unused:UNUSED_PAD src0_sel:WORD_1 src1_sel:DWORD
	v_fma_f16 v2, v45, v10, v2
	v_mul_f16_sdwa v10, v45, v10 dst_sel:DWORD dst_unused:UNUSED_PAD src0_sel:WORD_1 src1_sel:DWORD
	v_fma_f16 v5, v45, v5, -v10
	v_pack_b32_f16 v2, v2, v5
	s_mov_b32 s14, 0xbb9c
	s_mov_b32 s13, 0xb8b4
	s_movk_i32 s12, 0x34f2
	s_movk_i32 s15, 0x3a79
	s_waitcnt vmcnt(11)
	v_lshrrev_b32_e32 v5, 16, v7
	v_mul_f16_sdwa v10, v43, v5 dst_sel:DWORD dst_unused:UNUSED_PAD src0_sel:WORD_1 src1_sel:DWORD
	v_fma_f16 v10, v43, v7, v10
	v_mul_f16_sdwa v7, v43, v7 dst_sel:DWORD dst_unused:UNUSED_PAD src0_sel:WORD_1 src1_sel:DWORD
	v_fma_f16 v5, v43, v5, -v7
	v_pack_b32_f16 v5, v10, v5
	s_waitcnt vmcnt(10)
	v_lshrrev_b32_e32 v7, 16, v8
	v_mul_f16_sdwa v10, v41, v7 dst_sel:DWORD dst_unused:UNUSED_PAD src0_sel:WORD_1 src1_sel:DWORD
	v_fma_f16 v10, v41, v8, v10
	v_mul_f16_sdwa v8, v41, v8 dst_sel:DWORD dst_unused:UNUSED_PAD src0_sel:WORD_1 src1_sel:DWORD
	v_fma_f16 v7, v41, v7, -v8
	v_pack_b32_f16 v7, v10, v7
	ds_write2st64_b32 v33, v4, v7 offset0:12 offset1:14
	s_waitcnt vmcnt(9)
	v_lshrrev_b32_e32 v4, 16, v9
	v_mul_f16_sdwa v7, v42, v4 dst_sel:DWORD dst_unused:UNUSED_PAD src0_sel:WORD_1 src1_sel:DWORD
	v_mul_f16_sdwa v8, v42, v9 dst_sel:DWORD dst_unused:UNUSED_PAD src0_sel:WORD_1 src1_sel:DWORD
	v_fma_f16 v7, v42, v9, v7
	v_fma_f16 v4, v42, v4, -v8
	v_pack_b32_f16 v4, v7, v4
	s_waitcnt vmcnt(8)
	v_lshrrev_b32_e32 v7, 16, v11
	v_mul_f16_sdwa v8, v40, v7 dst_sel:DWORD dst_unused:UNUSED_PAD src0_sel:WORD_1 src1_sel:DWORD
	v_mul_f16_sdwa v9, v40, v11 dst_sel:DWORD dst_unused:UNUSED_PAD src0_sel:WORD_1 src1_sel:DWORD
	v_fma_f16 v8, v40, v11, v8
	v_fma_f16 v7, v40, v7, -v9
	v_pack_b32_f16 v7, v8, v7
	ds_write2st64_b32 v33, v2, v7 offset0:32 offset1:34
	s_waitcnt vmcnt(7)
	v_lshrrev_b32_e32 v2, 16, v12
	v_mul_f16_sdwa v7, v38, v2 dst_sel:DWORD dst_unused:UNUSED_PAD src0_sel:WORD_1 src1_sel:DWORD
	v_mul_f16_sdwa v8, v38, v12 dst_sel:DWORD dst_unused:UNUSED_PAD src0_sel:WORD_1 src1_sel:DWORD
	v_fma_f16 v7, v38, v12, v7
	v_fma_f16 v2, v38, v2, -v8
	v_pack_b32_f16 v2, v7, v2
	ds_write2st64_b32 v33, v5, v2 offset0:4 offset1:6
	s_waitcnt vmcnt(6)
	v_lshrrev_b32_e32 v2, 16, v13
	v_mul_f16_sdwa v5, v39, v2 dst_sel:DWORD dst_unused:UNUSED_PAD src0_sel:WORD_1 src1_sel:DWORD
	v_mul_f16_sdwa v7, v39, v13 dst_sel:DWORD dst_unused:UNUSED_PAD src0_sel:WORD_1 src1_sel:DWORD
	v_fma_f16 v5, v39, v13, v5
	v_fma_f16 v2, v39, v2, -v7
	v_pack_b32_f16 v2, v5, v2
	s_waitcnt vmcnt(5)
	v_lshrrev_b32_e32 v5, 16, v14
	v_mul_f16_sdwa v7, v37, v5 dst_sel:DWORD dst_unused:UNUSED_PAD src0_sel:WORD_1 src1_sel:DWORD
	v_mul_f16_sdwa v8, v37, v14 dst_sel:DWORD dst_unused:UNUSED_PAD src0_sel:WORD_1 src1_sel:DWORD
	v_fma_f16 v7, v37, v14, v7
	v_fma_f16 v5, v37, v5, -v8
	v_pack_b32_f16 v5, v7, v5
	ds_write2st64_b32 v33, v4, v5 offset0:24 offset1:26
	s_waitcnt vmcnt(4)
	v_lshrrev_b32_e32 v4, 16, v15
	v_mul_f16_sdwa v5, v36, v4 dst_sel:DWORD dst_unused:UNUSED_PAD src0_sel:WORD_1 src1_sel:DWORD
	v_mul_f16_sdwa v7, v36, v15 dst_sel:DWORD dst_unused:UNUSED_PAD src0_sel:WORD_1 src1_sel:DWORD
	v_fma_f16 v5, v36, v15, v5
	v_fma_f16 v4, v36, v4, -v7
	v_pack_b32_f16 v4, v5, v4
	;; [unrolled: 15-line block ×3, first 2 shown]
	ds_write2st64_b32 v33, v2, v5 offset0:16 offset1:18
	s_waitcnt vmcnt(1)
	v_lshrrev_b32_e32 v2, 16, v18
	v_mul_f16_sdwa v5, v32, v2 dst_sel:DWORD dst_unused:UNUSED_PAD src0_sel:WORD_1 src1_sel:DWORD
	v_mul_f16_sdwa v6, v32, v18 dst_sel:DWORD dst_unused:UNUSED_PAD src0_sel:WORD_1 src1_sel:DWORD
	v_fma_f16 v5, v32, v18, v5
	v_fma_f16 v2, v32, v2, -v6
	v_pack_b32_f16 v2, v5, v2
	ds_write2st64_b32 v33, v2, v3 offset0:28 offset1:30
	s_waitcnt vmcnt(0)
	v_lshrrev_b32_e32 v2, 16, v1
	v_mul_f16_sdwa v3, v31, v2 dst_sel:DWORD dst_unused:UNUSED_PAD src0_sel:WORD_1 src1_sel:DWORD
	v_fma_f16 v3, v31, v1, v3
	v_mul_f16_sdwa v1, v31, v1 dst_sel:DWORD dst_unused:UNUSED_PAD src0_sel:WORD_1 src1_sel:DWORD
	v_fma_f16 v1, v31, v2, -v1
	v_pack_b32_f16 v1, v3, v1
	ds_write2st64_b32 v33, v4, v1 offset0:36 offset1:38
	s_waitcnt lgkmcnt(0)
	s_barrier
	ds_read2st64_b32 v[1:2], v33 offset1:2
	ds_read2st64_b32 v[3:4], v33 offset0:20 offset1:22
	ds_read2st64_b32 v[6:7], v33 offset0:8 offset1:10
	;; [unrolled: 1-line block ×3, first 2 shown]
	s_waitcnt lgkmcnt(2)
	v_pk_add_f16 v5, v1, v3 neg_lo:[0,1] neg_hi:[0,1]
	v_pk_add_f16 v4, v2, v4 neg_lo:[0,1] neg_hi:[0,1]
	s_waitcnt lgkmcnt(0)
	v_pk_add_f16 v9, v7, v9 neg_lo:[0,1] neg_hi:[0,1]
	v_pk_fma_f16 v3, v7, 2.0, v9 op_sel_hi:[1,0,1] neg_lo:[0,0,1] neg_hi:[0,0,1]
	v_lshrrev_b32_e32 v7, 16, v5
	v_sub_f16_sdwa v21, v5, v9 dst_sel:DWORD dst_unused:UNUSED_PAD src0_sel:DWORD src1_sel:WORD_1
	v_add_f16_e32 v22, v7, v9
	ds_read2st64_b32 v[9:10], v33 offset0:12 offset1:14
	ds_read2st64_b32 v[11:12], v33 offset0:32 offset1:34
	;; [unrolled: 1-line block ×4, first 2 shown]
	v_pk_fma_f16 v1, v1, 2.0, v5 op_sel_hi:[1,0,1] neg_lo:[0,0,1] neg_hi:[0,0,1]
	v_fma_f16 v23, v5, 2.0, -v21
	v_pk_fma_f16 v2, v2, 2.0, v4 op_sel_hi:[1,0,1] neg_lo:[0,0,1] neg_hi:[0,0,1]
	s_waitcnt lgkmcnt(2)
	v_pk_add_f16 v11, v9, v11 neg_lo:[0,1] neg_hi:[0,1]
	v_pk_fma_f16 v5, v9, 2.0, v11 op_sel_hi:[1,0,1] neg_lo:[0,0,1] neg_hi:[0,0,1]
	v_fma_f16 v24, v7, 2.0, -v22
	v_pk_add_f16 v7, v2, v5 neg_lo:[0,1] neg_hi:[0,1]
	v_pk_fma_f16 v5, v2, 2.0, v7 op_sel_hi:[1,0,1] neg_lo:[0,0,1] neg_hi:[0,0,1]
	v_lshrrev_b32_e32 v2, 16, v4
	v_add_f16_e32 v26, v2, v11
	v_sub_f16_sdwa v25, v4, v11 dst_sel:DWORD dst_unused:UNUSED_PAD src0_sel:DWORD src1_sel:WORD_1
	v_fma_f16 v28, v2, 2.0, -v26
	s_waitcnt lgkmcnt(0)
	v_pk_add_f16 v2, v13, v15 neg_lo:[0,1] neg_hi:[0,1]
	v_pk_add_f16 v12, v10, v12 neg_lo:[0,1] neg_hi:[0,1]
	ds_read2st64_b32 v[17:18], v33 offset0:16 offset1:18
	ds_read2st64_b32 v[19:20], v33 offset0:36 offset1:38
	v_fma_f16 v27, v4, 2.0, -v25
	v_pk_fma_f16 v4, v13, 2.0, v2 op_sel_hi:[1,0,1] neg_lo:[0,0,1] neg_hi:[0,0,1]
	v_pk_fma_f16 v9, v10, 2.0, v12 op_sel_hi:[1,0,1] neg_lo:[0,0,1] neg_hi:[0,0,1]
	v_pk_add_f16 v11, v4, v9 neg_lo:[0,1] neg_hi:[0,1]
	v_pk_fma_f16 v9, v4, 2.0, v11 op_sel_hi:[1,0,1] neg_lo:[0,0,1] neg_hi:[0,0,1]
	v_sub_f16_sdwa v10, v2, v12 dst_sel:DWORD dst_unused:UNUSED_PAD src0_sel:DWORD src1_sel:WORD_1
	v_lshrrev_b32_e32 v4, 16, v2
	v_add_f16_e32 v12, v4, v12
	v_fma_f16 v29, v2, 2.0, -v10
	v_pk_add_f16 v2, v14, v16 neg_lo:[0,1] neg_hi:[0,1]
	v_fma_f16 v52, v4, 2.0, -v12
	v_pk_fma_f16 v4, v14, 2.0, v2 op_sel_hi:[1,0,1] neg_lo:[0,0,1] neg_hi:[0,0,1]
	s_waitcnt lgkmcnt(0)
	v_pk_add_f16 v14, v17, v19 neg_lo:[0,1] neg_hi:[0,1]
	v_pk_fma_f16 v13, v17, 2.0, v14 op_sel_hi:[1,0,1] neg_lo:[0,0,1] neg_hi:[0,0,1]
	v_pk_add_f16 v15, v4, v13 neg_lo:[0,1] neg_hi:[0,1]
	v_pk_fma_f16 v13, v4, 2.0, v15 op_sel_hi:[1,0,1] neg_lo:[0,0,1] neg_hi:[0,0,1]
	v_sub_f16_sdwa v16, v2, v14 dst_sel:DWORD dst_unused:UNUSED_PAD src0_sel:DWORD src1_sel:WORD_1
	v_lshrrev_b32_e32 v4, 16, v2
	v_add_f16_e32 v14, v4, v14
	v_fma_f16 v53, v2, 2.0, -v16
	v_pk_add_f16 v2, v6, v8 neg_lo:[0,1] neg_hi:[0,1]
	v_fma_f16 v57, v4, 2.0, -v14
	v_pk_fma_f16 v4, v6, 2.0, v2 op_sel_hi:[1,0,1] neg_lo:[0,0,1] neg_hi:[0,0,1]
	v_pk_add_f16 v6, v18, v20 neg_lo:[0,1] neg_hi:[0,1]
	v_pk_fma_f16 v8, v18, 2.0, v6 op_sel_hi:[1,0,1] neg_lo:[0,0,1] neg_hi:[0,0,1]
	v_pk_add_f16 v19, v4, v8 neg_lo:[0,1] neg_hi:[0,1]
	v_pk_fma_f16 v17, v4, 2.0, v19 op_sel_hi:[1,0,1] neg_lo:[0,0,1] neg_hi:[0,0,1]
	v_lshrrev_b32_e32 v4, 16, v2
	v_pk_add_f16 v3, v1, v3 neg_lo:[0,1] neg_hi:[0,1]
	v_sub_f16_sdwa v18, v2, v6 dst_sel:DWORD dst_unused:UNUSED_PAD src0_sel:DWORD src1_sel:WORD_1
	v_add_f16_e32 v20, v4, v6
	v_pack_b32_f16 v8, v25, v26
	v_pack_b32_f16 v6, v27, v28
	v_pk_fma_f16 v1, v1, 2.0, v3 op_sel_hi:[1,0,1] neg_lo:[0,0,1] neg_hi:[0,0,1]
	v_fma_f16 v60, v2, 2.0, -v18
	v_fma_f16 v64, v4, 2.0, -v20
	s_barrier
	v_pack_b32_f16 v4, v21, v22
	v_pack_b32_f16 v2, v23, v24
	ds_write_b128 v54, v[5:8] offset:2048
	v_and_b32_e32 v5, 3, v0
	ds_write_b128 v54, v[1:4]
	v_mad_u64_u32 v[1:2], s[0:1], v5, 12, s[2:3]
	v_pack_b32_f16 v12, v10, v12
	v_pack_b32_f16 v10, v29, v52
	;; [unrolled: 1-line block ×6, first 2 shown]
	ds_write_b128 v54, v[9:12] offset:4096
	ds_write_b128 v54, v[13:16] offset:6144
	;; [unrolled: 1-line block ×3, first 2 shown]
	s_waitcnt lgkmcnt(0)
	s_barrier
	global_load_dwordx3 v[9:11], v[1:2], off
	ds_read2st64_b32 v[6:7], v33 offset1:2
	ds_read2st64_b32 v[12:13], v33 offset0:8 offset1:10
	ds_read2st64_b32 v[14:15], v33 offset0:20 offset1:22
	;; [unrolled: 1-line block ×5, first 2 shown]
	s_waitcnt lgkmcnt(5)
	v_lshrrev_b32_e32 v8, 16, v6
	s_waitcnt lgkmcnt(4)
	v_lshrrev_b32_e32 v22, 16, v13
	;; [unrolled: 2-line block ×4, first 2 shown]
	s_movk_i32 s0, 0x1f0
	v_lshrrev_b32_e32 v65, 16, v15
	ds_read2st64_b32 v[24:25], v33 offset0:24 offset1:26
	ds_read2st64_b32 v[26:27], v33 offset0:4 offset1:6
	;; [unrolled: 1-line block ×3, first 2 shown]
	s_waitcnt lgkmcnt(4)
	v_lshrrev_b32_e32 v64, 16, v18
	s_waitcnt lgkmcnt(3)
	v_lshrrev_b32_e32 v66, 16, v20
	v_lshrrev_b32_e32 v67, 16, v19
	;; [unrolled: 1-line block ×3, first 2 shown]
	s_waitcnt lgkmcnt(2)
	v_lshrrev_b32_e32 v68, 16, v24
	v_lshrrev_b32_e32 v60, 16, v7
	;; [unrolled: 1-line block ×3, first 2 shown]
	v_or_b32_e32 v23, 0x80, v0
	v_lshlrev_b32_e32 v4, 2, v23
	v_or_b32_e32 v3, 0x400, v33
	v_or_b32_e32 v2, 0x600, v33
	;; [unrolled: 1-line block ×3, first 2 shown]
	v_lshrrev_b32_e32 v23, 6, v23
	v_mul_u32_u24_e32 v23, 0x280, v23
	s_waitcnt vmcnt(0)
	v_mul_f16_sdwa v57, v22, v9 dst_sel:DWORD dst_unused:UNUSED_PAD src0_sel:DWORD src1_sel:WORD_1
	v_fma_f16 v57, v13, v9, -v57
	v_mul_f16_sdwa v13, v13, v9 dst_sel:DWORD dst_unused:UNUSED_PAD src0_sel:DWORD src1_sel:WORD_1
	v_fma_f16 v13, v22, v9, v13
	v_mul_f16_sdwa v22, v52, v10 dst_sel:DWORD dst_unused:UNUSED_PAD src0_sel:DWORD src1_sel:WORD_1
	v_fma_f16 v22, v14, v10, -v22
	v_mul_f16_sdwa v14, v14, v10 dst_sel:DWORD dst_unused:UNUSED_PAD src0_sel:DWORD src1_sel:WORD_1
	v_fma_f16 v14, v52, v10, v14
	;; [unrolled: 4-line block ×3, first 2 shown]
	v_sub_f16_e32 v22, v6, v22
	v_sub_f16_e32 v53, v8, v14
	;; [unrolled: 1-line block ×4, first 2 shown]
	v_fma_f16 v6, v6, 2.0, -v22
	v_fma_f16 v8, v8, 2.0, -v53
	;; [unrolled: 1-line block ×4, first 2 shown]
	v_sub_f16_e32 v70, v6, v14
	v_sub_f16_e32 v76, v8, v13
	v_fma_f16 v6, v6, 2.0, -v70
	v_fma_f16 v8, v8, 2.0, -v76
	v_pack_b32_f16 v6, v6, v8
	v_sub_f16_e32 v8, v22, v17
	v_add_f16_e32 v17, v53, v52
	v_fma_f16 v22, v22, 2.0, -v8
	v_fma_f16 v52, v53, 2.0, -v17
	v_pack_b32_f16 v22, v22, v52
	v_and_or_b32 v52, v33, s0, v5
	v_lshlrev_b32_e32 v57, 2, v52
	v_pack_b32_f16 v52, v70, v76
	v_pack_b32_f16 v8, v8, v17
	ds_read2st64_b32 v[13:14], v33 offset0:36 offset1:38
	s_waitcnt lgkmcnt(0)
	s_barrier
	ds_write2_b32 v57, v52, v8 offset0:8 offset1:12
	v_mul_f16_sdwa v52, v65, v10 dst_sel:DWORD dst_unused:UNUSED_PAD src0_sel:DWORD src1_sel:WORD_1
	v_fma_f16 v52, v15, v10, -v52
	v_mul_f16_sdwa v15, v15, v10 dst_sel:DWORD dst_unused:UNUSED_PAD src0_sel:DWORD src1_sel:WORD_1
	v_mul_f16_sdwa v70, v18, v9 dst_sel:DWORD dst_unused:UNUSED_PAD src0_sel:DWORD src1_sel:WORD_1
	v_fma_f16 v70, v64, v9, v70
	v_mul_f16_sdwa v64, v64, v9 dst_sel:DWORD dst_unused:UNUSED_PAD src0_sel:DWORD src1_sel:WORD_1
	v_fma_f16 v15, v65, v10, v15
	v_mul_f16_sdwa v65, v20, v11 dst_sel:DWORD dst_unused:UNUSED_PAD src0_sel:DWORD src1_sel:WORD_1
	v_fma_f16 v18, v18, v9, -v64
	v_mul_f16_sdwa v64, v67, v9 dst_sel:DWORD dst_unused:UNUSED_PAD src0_sel:DWORD src1_sel:WORD_1
	v_fma_f16 v65, v66, v11, v65
	v_mul_f16_sdwa v66, v66, v11 dst_sel:DWORD dst_unused:UNUSED_PAD src0_sel:DWORD src1_sel:WORD_1
	v_fma_f16 v64, v19, v9, -v64
	v_mul_f16_sdwa v19, v19, v9 dst_sel:DWORD dst_unused:UNUSED_PAD src0_sel:DWORD src1_sel:WORD_1
	v_fma_f16 v20, v20, v11, -v66
	v_mul_f16_sdwa v66, v69, v11 dst_sel:DWORD dst_unused:UNUSED_PAD src0_sel:DWORD src1_sel:WORD_1
	v_fma_f16 v19, v67, v9, v19
	v_fma_f16 v66, v21, v11, -v66
	v_mul_f16_sdwa v21, v21, v11 dst_sel:DWORD dst_unused:UNUSED_PAD src0_sel:DWORD src1_sel:WORD_1
	v_mul_f16_sdwa v67, v24, v10 dst_sel:DWORD dst_unused:UNUSED_PAD src0_sel:DWORD src1_sel:WORD_1
	ds_write2_b32 v57, v6, v22 offset1:4
	v_lshrrev_b32_e32 v6, 16, v28
	v_lshrrev_b32_e32 v22, 16, v25
	v_fma_f16 v67, v68, v10, v67
	v_mul_f16_sdwa v68, v68, v10 dst_sel:DWORD dst_unused:UNUSED_PAD src0_sel:DWORD src1_sel:WORD_1
	v_fma_f16 v21, v69, v11, v21
	v_mul_f16_sdwa v69, v28, v9 dst_sel:DWORD dst_unused:UNUSED_PAD src0_sel:DWORD src1_sel:WORD_1
	v_fma_f16 v24, v24, v10, -v68
	v_mul_f16_sdwa v68, v22, v10 dst_sel:DWORD dst_unused:UNUSED_PAD src0_sel:DWORD src1_sel:WORD_1
	v_fma_f16 v69, v6, v9, v69
	v_mul_f16_sdwa v6, v6, v9 dst_sel:DWORD dst_unused:UNUSED_PAD src0_sel:DWORD src1_sel:WORD_1
	v_lshrrev_b32_e32 v17, 16, v29
	v_lshrrev_b32_e32 v8, 16, v16
	v_fma_f16 v68, v25, v10, -v68
	v_mul_f16_sdwa v25, v25, v10 dst_sel:DWORD dst_unused:UNUSED_PAD src0_sel:DWORD src1_sel:WORD_1
	v_fma_f16 v6, v28, v9, -v6
	v_mul_f16_sdwa v28, v29, v9 dst_sel:DWORD dst_unused:UNUSED_PAD src0_sel:DWORD src1_sel:WORD_1
	v_fma_f16 v22, v22, v10, v25
	v_mul_f16_sdwa v25, v17, v9 dst_sel:DWORD dst_unused:UNUSED_PAD src0_sel:DWORD src1_sel:WORD_1
	v_fma_f16 v17, v17, v9, v28
	v_mul_f16_sdwa v28, v8, v10 dst_sel:DWORD dst_unused:UNUSED_PAD src0_sel:DWORD src1_sel:WORD_1
	v_lshrrev_b32_e32 v53, 16, v13
	v_fma_f16 v25, v29, v9, -v25
	v_lshrrev_b32_e32 v29, 16, v14
	v_fma_f16 v28, v16, v10, -v28
	v_mul_f16_sdwa v16, v16, v10 dst_sel:DWORD dst_unused:UNUSED_PAD src0_sel:DWORD src1_sel:WORD_1
	v_mul_f16_sdwa v76, v13, v11 dst_sel:DWORD dst_unused:UNUSED_PAD src0_sel:DWORD src1_sel:WORD_1
	v_fma_f16 v76, v53, v11, v76
	v_mul_f16_sdwa v53, v53, v11 dst_sel:DWORD dst_unused:UNUSED_PAD src0_sel:DWORD src1_sel:WORD_1
	v_fma_f16 v8, v8, v10, v16
	v_mul_f16_sdwa v16, v29, v11 dst_sel:DWORD dst_unused:UNUSED_PAD src0_sel:DWORD src1_sel:WORD_1
	v_fma_f16 v13, v13, v11, -v53
	v_fma_f16 v16, v14, v11, -v16
	v_mul_f16_sdwa v14, v14, v11 dst_sel:DWORD dst_unused:UNUSED_PAD src0_sel:DWORD src1_sel:WORD_1
	v_lshrrev_b32_e32 v53, 16, v26
	v_fma_f16 v14, v29, v11, v14
	v_sub_f16_e32 v67, v53, v67
	v_sub_f16_e32 v66, v64, v66
	v_sub_f16_e32 v52, v7, v52
	v_sub_f16_e32 v68, v27, v68
	v_sub_f16_e32 v15, v60, v15
	v_sub_f16_e32 v20, v18, v20
	v_sub_f16_e32 v65, v70, v65
	v_fma_f16 v64, v64, 2.0, -v66
	v_add_f16_e32 v78, v67, v66
	v_sub_f16_e32 v66, v69, v76
	v_sub_f16_e32 v8, v77, v8
	;; [unrolled: 1-line block ×3, first 2 shown]
	v_fma_f16 v7, v7, 2.0, -v52
	v_fma_f16 v60, v60, 2.0, -v15
	v_fma_f16 v18, v18, 2.0, -v20
	v_fma_f16 v70, v70, 2.0, -v65
	v_fma_f16 v69, v69, 2.0, -v66
	v_sub_f16_e32 v76, v68, v66
	v_fma_f16 v66, v77, 2.0, -v8
	v_fma_f16 v17, v17, 2.0, -v14
	v_sub_f16_e32 v18, v7, v18
	v_sub_f16_e32 v70, v60, v70
	;; [unrolled: 1-line block ×3, first 2 shown]
	v_add_f16_e32 v20, v15, v20
	v_sub_f16_e32 v17, v66, v17
	s_movk_i32 s0, 0x3f0
	v_sub_f16_e32 v24, v26, v24
	v_fma_f16 v7, v7, 2.0, -v18
	v_fma_f16 v60, v60, 2.0, -v70
	;; [unrolled: 1-line block ×4, first 2 shown]
	v_sub_f16_e32 v21, v19, v21
	v_fma_f16 v77, v66, 2.0, -v17
	v_and_or_b32 v66, v4, s0, v5
	v_fma_f16 v26, v26, 2.0, -v24
	v_fma_f16 v53, v53, 2.0, -v67
	;; [unrolled: 1-line block ×3, first 2 shown]
	v_lshlrev_b32_e32 v66, 2, v66
	v_pack_b32_f16 v7, v7, v60
	v_pack_b32_f16 v15, v52, v15
	v_lshrrev_b32_e32 v29, 16, v27
	v_sub_f16_e32 v64, v26, v64
	v_sub_f16_e32 v19, v53, v19
	;; [unrolled: 1-line block ×3, first 2 shown]
	ds_write2_b32 v66, v7, v15 offset1:4
	v_pack_b32_f16 v7, v18, v70
	v_pack_b32_f16 v15, v65, v20
	s_movk_i32 s0, 0x5f0
	v_fma_f16 v26, v26, 2.0, -v64
	v_fma_f16 v53, v53, 2.0, -v19
	;; [unrolled: 1-line block ×4, first 2 shown]
	v_sub_f16_e32 v22, v29, v22
	v_sub_f16_e32 v13, v6, v13
	ds_write2_b32 v66, v7, v15 offset0:8 offset1:12
	v_and_or_b32 v7, v3, s0, v5
	v_fma_f16 v27, v27, 2.0, -v68
	v_fma_f16 v29, v29, 2.0, -v22
	;; [unrolled: 1-line block ×3, first 2 shown]
	v_lshlrev_b32_e32 v70, 2, v7
	v_pack_b32_f16 v7, v26, v53
	v_pack_b32_f16 v15, v24, v67
	v_sub_f16_e32 v6, v27, v6
	v_sub_f16_e32 v69, v29, v69
	v_add_f16_e32 v13, v22, v13
	v_sub_f16_e32 v28, v12, v28
	v_sub_f16_e32 v16, v25, v16
	ds_write2_b32 v70, v7, v15 offset1:4
	v_pack_b32_f16 v7, v64, v19
	v_pack_b32_f16 v15, v21, v78
	s_movk_i32 s0, 0x7f0
	v_fma_f16 v27, v27, 2.0, -v6
	v_fma_f16 v29, v29, 2.0, -v69
	;; [unrolled: 1-line block ×6, first 2 shown]
	ds_write2_b32 v70, v7, v15 offset0:8 offset1:12
	v_and_or_b32 v7, v2, s0, v5
	v_sub_f16_e32 v25, v12, v25
	v_sub_f16_e32 v14, v28, v14
	v_add_f16_e32 v16, v8, v16
	v_lshlrev_b32_e32 v68, 2, v7
	v_pack_b32_f16 v7, v27, v29
	v_pack_b32_f16 v15, v79, v22
	s_movk_i32 s0, 0x9f0
	v_fma_f16 v12, v12, 2.0, -v25
	v_fma_f16 v28, v28, 2.0, -v14
	;; [unrolled: 1-line block ×3, first 2 shown]
	ds_write2_b32 v68, v7, v15 offset1:4
	v_pack_b32_f16 v6, v6, v69
	v_pack_b32_f16 v7, v76, v13
	v_and_or_b32 v5, v1, s0, v5
	ds_write2_b32 v68, v6, v7 offset0:8 offset1:12
	v_lshlrev_b32_e32 v69, 2, v5
	v_pack_b32_f16 v5, v12, v77
	v_pack_b32_f16 v6, v28, v8
	ds_write2_b32 v69, v5, v6 offset1:4
	v_pack_b32_f16 v5, v25, v17
	v_pack_b32_f16 v6, v14, v16
	ds_write2_b32 v69, v5, v6 offset0:8 offset1:12
	v_and_b32_e32 v5, 15, v0
	v_mad_u64_u32 v[6:7], s[0:1], v5, 12, s[2:3]
	s_waitcnt lgkmcnt(0)
	s_barrier
	global_load_dwordx3 v[18:20], v[6:7], off offset:48
	ds_read2st64_b32 v[6:7], v33 offset1:2
	ds_read2st64_b32 v[12:13], v33 offset0:8 offset1:10
	ds_read2st64_b32 v[14:15], v33 offset0:20 offset1:22
	;; [unrolled: 1-line block ×3, first 2 shown]
	s_movk_i32 s0, 0x1c0
	s_waitcnt lgkmcnt(3)
	v_lshrrev_b32_e32 v8, 16, v6
	s_waitcnt lgkmcnt(2)
	v_lshrrev_b32_e32 v60, 16, v13
	;; [unrolled: 2-line block ×4, first 2 shown]
	ds_read2st64_b32 v[21:22], v33 offset0:12 offset1:14
	ds_read2st64_b32 v[24:25], v33 offset0:32 offset1:34
	;; [unrolled: 1-line block ×5, first 2 shown]
	s_waitcnt vmcnt(0)
	v_mul_f16_sdwa v67, v60, v18 dst_sel:DWORD dst_unused:UNUSED_PAD src0_sel:DWORD src1_sel:WORD_1
	v_fma_f16 v67, v13, v18, -v67
	v_mul_f16_sdwa v13, v13, v18 dst_sel:DWORD dst_unused:UNUSED_PAD src0_sel:DWORD src1_sel:WORD_1
	v_fma_f16 v13, v60, v18, v13
	v_mul_f16_sdwa v60, v64, v19 dst_sel:DWORD dst_unused:UNUSED_PAD src0_sel:DWORD src1_sel:WORD_1
	v_fma_f16 v60, v14, v19, -v60
	v_mul_f16_sdwa v14, v14, v19 dst_sel:DWORD dst_unused:UNUSED_PAD src0_sel:DWORD src1_sel:WORD_1
	v_fma_f16 v14, v64, v19, v14
	;; [unrolled: 4-line block ×3, first 2 shown]
	v_sub_f16_e32 v60, v6, v60
	v_sub_f16_e32 v14, v8, v14
	;; [unrolled: 1-line block ×4, first 2 shown]
	v_fma_f16 v6, v6, 2.0, -v60
	v_fma_f16 v8, v8, 2.0, -v14
	;; [unrolled: 1-line block ×4, first 2 shown]
	v_sub_f16_e32 v67, v6, v65
	v_sub_f16_e32 v76, v8, v13
	;; [unrolled: 1-line block ×3, first 2 shown]
	v_add_f16_e32 v64, v14, v64
	v_fma_f16 v6, v6, 2.0, -v67
	v_fma_f16 v8, v8, 2.0, -v76
	;; [unrolled: 1-line block ×4, first 2 shown]
	v_and_or_b32 v60, v33, s0, v5
	v_pack_b32_f16 v6, v6, v8
	v_pack_b32_f16 v8, v13, v14
	v_lshlrev_b32_e32 v65, 2, v60
	ds_read2st64_b32 v[13:14], v33 offset0:36 offset1:38
	s_waitcnt lgkmcnt(0)
	s_barrier
	ds_write2_b32 v65, v6, v8 offset1:16
	v_pack_b32_f16 v8, v67, v76
	v_pack_b32_f16 v17, v17, v64
	v_lshrrev_b32_e32 v64, 16, v15
	ds_write2_b32 v65, v8, v17 offset0:32 offset1:48
	v_mul_f16_sdwa v17, v64, v19 dst_sel:DWORD dst_unused:UNUSED_PAD src0_sel:DWORD src1_sel:WORD_1
	v_fma_f16 v17, v15, v19, -v17
	v_mul_f16_sdwa v15, v15, v19 dst_sel:DWORD dst_unused:UNUSED_PAD src0_sel:DWORD src1_sel:WORD_1
	v_lshrrev_b32_e32 v60, 16, v21
	v_fma_f16 v15, v64, v19, v15
	v_mul_f16_sdwa v64, v21, v18 dst_sel:DWORD dst_unused:UNUSED_PAD src0_sel:DWORD src1_sel:WORD_1
	v_fma_f16 v64, v60, v18, v64
	v_mul_f16_sdwa v60, v60, v18 dst_sel:DWORD dst_unused:UNUSED_PAD src0_sel:DWORD src1_sel:WORD_1
	v_lshrrev_b32_e32 v8, 16, v24
	v_fma_f16 v21, v21, v18, -v60
	v_mul_f16_sdwa v60, v24, v20 dst_sel:DWORD dst_unused:UNUSED_PAD src0_sel:DWORD src1_sel:WORD_1
	v_fma_f16 v60, v8, v20, v60
	v_mul_f16_sdwa v8, v8, v20 dst_sel:DWORD dst_unused:UNUSED_PAD src0_sel:DWORD src1_sel:WORD_1
	v_lshrrev_b32_e32 v6, 16, v7
	v_fma_f16 v8, v24, v20, -v8
	v_sub_f16_e32 v17, v7, v17
	v_sub_f16_e32 v15, v6, v15
	;; [unrolled: 1-line block ×4, first 2 shown]
	v_fma_f16 v7, v7, 2.0, -v17
	v_fma_f16 v6, v6, 2.0, -v15
	;; [unrolled: 1-line block ×4, first 2 shown]
	v_sub_f16_e32 v21, v7, v21
	v_sub_f16_e32 v64, v6, v60
	;; [unrolled: 1-line block ×3, first 2 shown]
	v_add_f16_e32 v8, v15, v8
	s_movk_i32 s0, 0x3c0
	v_fma_f16 v7, v7, 2.0, -v21
	v_fma_f16 v6, v6, 2.0, -v64
	v_fma_f16 v17, v17, 2.0, -v24
	v_fma_f16 v15, v15, 2.0, -v8
	v_and_or_b32 v4, v4, s0, v5
	v_pack_b32_f16 v6, v7, v6
	v_pack_b32_f16 v15, v17, v15
	v_lshlrev_b32_e32 v60, 2, v4
	v_lshrrev_b32_e32 v7, 16, v22
	ds_write2_b32 v60, v6, v15 offset1:16
	v_pack_b32_f16 v15, v21, v64
	v_pack_b32_f16 v8, v24, v8
	ds_write2_b32 v60, v15, v8 offset0:32 offset1:48
	v_mul_f16_sdwa v15, v7, v18 dst_sel:DWORD dst_unused:UNUSED_PAD src0_sel:DWORD src1_sel:WORD_1
	v_lshrrev_b32_e32 v4, 16, v25
	v_fma_f16 v15, v22, v18, -v15
	v_mul_f16_sdwa v22, v22, v18 dst_sel:DWORD dst_unused:UNUSED_PAD src0_sel:DWORD src1_sel:WORD_1
	v_fma_f16 v7, v7, v18, v22
	v_mul_f16_sdwa v22, v4, v20 dst_sel:DWORD dst_unused:UNUSED_PAD src0_sel:DWORD src1_sel:WORD_1
	v_lshrrev_b32_e32 v17, 16, v28
	v_lshrrev_b32_e32 v21, 16, v29
	v_fma_f16 v22, v25, v20, -v22
	v_mul_f16_sdwa v25, v25, v20 dst_sel:DWORD dst_unused:UNUSED_PAD src0_sel:DWORD src1_sel:WORD_1
	v_mul_f16_sdwa v76, v28, v19 dst_sel:DWORD dst_unused:UNUSED_PAD src0_sel:DWORD src1_sel:WORD_1
	v_fma_f16 v76, v17, v19, v76
	v_mul_f16_sdwa v17, v17, v19 dst_sel:DWORD dst_unused:UNUSED_PAD src0_sel:DWORD src1_sel:WORD_1
	v_fma_f16 v4, v4, v20, v25
	v_mul_f16_sdwa v25, v21, v19 dst_sel:DWORD dst_unused:UNUSED_PAD src0_sel:DWORD src1_sel:WORD_1
	v_lshrrev_b32_e32 v6, 16, v52
	v_fma_f16 v17, v28, v19, -v17
	v_fma_f16 v25, v29, v19, -v25
	v_mul_f16_sdwa v28, v29, v19 dst_sel:DWORD dst_unused:UNUSED_PAD src0_sel:DWORD src1_sel:WORD_1
	v_mul_f16_sdwa v29, v52, v18 dst_sel:DWORD dst_unused:UNUSED_PAD src0_sel:DWORD src1_sel:WORD_1
	v_fma_f16 v29, v6, v18, v29
	v_mul_f16_sdwa v6, v6, v18 dst_sel:DWORD dst_unused:UNUSED_PAD src0_sel:DWORD src1_sel:WORD_1
	v_lshrrev_b32_e32 v67, 16, v26
	v_lshrrev_b32_e32 v8, 16, v53
	;; [unrolled: 1-line block ×3, first 2 shown]
	v_fma_f16 v6, v52, v18, -v6
	v_mul_f16_sdwa v52, v53, v18 dst_sel:DWORD dst_unused:UNUSED_PAD src0_sel:DWORD src1_sel:WORD_1
	v_lshrrev_b32_e32 v24, 16, v13
	v_fma_f16 v21, v21, v19, v28
	v_mul_f16_sdwa v28, v8, v18 dst_sel:DWORD dst_unused:UNUSED_PAD src0_sel:DWORD src1_sel:WORD_1
	v_fma_f16 v8, v8, v18, v52
	v_mul_f16_sdwa v52, v64, v19 dst_sel:DWORD dst_unused:UNUSED_PAD src0_sel:DWORD src1_sel:WORD_1
	v_mul_f16_sdwa v77, v13, v20 dst_sel:DWORD dst_unused:UNUSED_PAD src0_sel:DWORD src1_sel:WORD_1
	v_sub_f16_e32 v76, v67, v76
	v_sub_f16_e32 v4, v7, v4
	v_fma_f16 v28, v53, v18, -v28
	v_lshrrev_b32_e32 v53, 16, v14
	v_fma_f16 v52, v16, v19, -v52
	v_mul_f16_sdwa v16, v16, v19 dst_sel:DWORD dst_unused:UNUSED_PAD src0_sel:DWORD src1_sel:WORD_1
	v_fma_f16 v77, v24, v20, v77
	v_mul_f16_sdwa v24, v24, v20 dst_sel:DWORD dst_unused:UNUSED_PAD src0_sel:DWORD src1_sel:WORD_1
	v_sub_f16_e32 v17, v26, v17
	v_fma_f16 v67, v67, 2.0, -v76
	v_sub_f16_e32 v22, v15, v22
	v_fma_f16 v7, v7, 2.0, -v4
	v_fma_f16 v13, v13, v20, -v24
	v_fma_f16 v16, v64, v19, v16
	v_mul_f16_sdwa v24, v53, v20 dst_sel:DWORD dst_unused:UNUSED_PAD src0_sel:DWORD src1_sel:WORD_1
	v_lshrrev_b32_e32 v64, 16, v27
	v_fma_f16 v26, v26, 2.0, -v17
	v_fma_f16 v15, v15, 2.0, -v22
	v_sub_f16_e32 v7, v67, v7
	v_fma_f16 v24, v14, v20, -v24
	v_mul_f16_sdwa v14, v14, v20 dst_sel:DWORD dst_unused:UNUSED_PAD src0_sel:DWORD src1_sel:WORD_1
	v_sub_f16_e32 v25, v27, v25
	v_sub_f16_e32 v15, v26, v15
	v_fma_f16 v78, v67, 2.0, -v7
	v_sub_f16_e32 v4, v17, v4
	v_add_f16_e32 v22, v76, v22
	v_sub_f16_e32 v21, v64, v21
	v_sub_f16_e32 v13, v6, v13
	;; [unrolled: 1-line block ×3, first 2 shown]
	s_movk_i32 s0, 0x5c0
	v_fma_f16 v14, v53, v20, v14
	v_fma_f16 v27, v27, 2.0, -v25
	v_lshrrev_b32_e32 v53, 16, v12
	v_fma_f16 v26, v26, 2.0, -v15
	v_fma_f16 v17, v17, 2.0, -v4
	;; [unrolled: 1-line block ×6, first 2 shown]
	v_and_or_b32 v3, v3, s0, v5
	v_sub_f16_e32 v6, v27, v6
	v_sub_f16_e32 v29, v64, v29
	;; [unrolled: 1-line block ×3, first 2 shown]
	v_add_f16_e32 v13, v21, v13
	v_sub_f16_e32 v52, v12, v52
	v_sub_f16_e32 v16, v53, v16
	;; [unrolled: 1-line block ×4, first 2 shown]
	v_lshlrev_b32_e32 v67, 2, v3
	v_pack_b32_f16 v3, v26, v78
	v_pack_b32_f16 v17, v17, v76
	s_movk_i32 s0, 0x7c0
	v_fma_f16 v27, v27, 2.0, -v6
	v_fma_f16 v64, v64, 2.0, -v29
	;; [unrolled: 1-line block ×8, first 2 shown]
	ds_write2_b32 v67, v3, v17 offset1:16
	v_pack_b32_f16 v3, v15, v7
	v_pack_b32_f16 v4, v4, v22
	v_and_or_b32 v2, v2, s0, v5
	v_sub_f16_e32 v28, v12, v28
	v_sub_f16_e32 v8, v53, v8
	;; [unrolled: 1-line block ×3, first 2 shown]
	v_add_f16_e32 v24, v16, v24
	ds_write2_b32 v67, v3, v4 offset0:32 offset1:48
	v_lshlrev_b32_e32 v76, 2, v2
	v_pack_b32_f16 v2, v27, v64
	v_pack_b32_f16 v3, v25, v21
	s_movk_i32 s0, 0x9c0
	v_fma_f16 v12, v12, 2.0, -v28
	v_fma_f16 v53, v53, 2.0, -v8
	;; [unrolled: 1-line block ×4, first 2 shown]
	ds_write2_b32 v76, v2, v3 offset1:16
	v_pack_b32_f16 v2, v6, v29
	v_pack_b32_f16 v3, v77, v13
	v_and_or_b32 v1, v1, s0, v5
	ds_write2_b32 v76, v2, v3 offset0:32 offset1:48
	v_lshlrev_b32_e32 v77, 2, v1
	v_pack_b32_f16 v1, v12, v53
	v_pack_b32_f16 v2, v52, v16
	ds_write2_b32 v77, v1, v2 offset1:16
	v_pack_b32_f16 v2, v14, v24
	v_and_b32_e32 v24, 63, v0
	v_mad_u64_u32 v[12:13], s[0:1], v24, 36, s[2:3]
	v_pack_b32_f16 v1, v28, v8
	ds_write2_b32 v77, v1, v2 offset0:32 offset1:48
	s_waitcnt lgkmcnt(0)
	s_barrier
	global_load_dwordx4 v[5:8], v[12:13], off offset:240
	global_load_dwordx4 v[1:4], v[12:13], off offset:256
	global_load_dword v64, v[12:13], off offset:272
	ds_read2st64_b32 v[21:22], v33 offset0:8 offset1:10
	ds_read2st64_b32 v[16:17], v33 offset0:16 offset1:18
	;; [unrolled: 1-line block ×4, first 2 shown]
	s_movk_i32 s1, 0x3b9c
	s_waitcnt lgkmcnt(3)
	v_lshrrev_b32_e32 v25, 16, v21
	s_waitcnt lgkmcnt(2)
	v_lshrrev_b32_e32 v26, 16, v16
	;; [unrolled: 2-line block ×4, first 2 shown]
	s_movk_i32 s0, 0x38b4
	v_or_b32_e32 v23, v23, v24
	s_waitcnt vmcnt(2)
	v_mul_f16_sdwa v29, v25, v6 dst_sel:DWORD dst_unused:UNUSED_PAD src0_sel:DWORD src1_sel:WORD_1
	v_fma_f16 v29, v21, v6, -v29
	v_mul_f16_sdwa v21, v21, v6 dst_sel:DWORD dst_unused:UNUSED_PAD src0_sel:DWORD src1_sel:WORD_1
	v_fma_f16 v21, v25, v6, v21
	v_mul_f16_sdwa v25, v26, v8 dst_sel:DWORD dst_unused:UNUSED_PAD src0_sel:DWORD src1_sel:WORD_1
	v_fma_f16 v84, v16, v8, -v25
	s_waitcnt vmcnt(1)
	v_mul_f16_sdwa v25, v27, v2 dst_sel:DWORD dst_unused:UNUSED_PAD src0_sel:DWORD src1_sel:WORD_1
	v_fma_f16 v85, v14, v2, -v25
	v_mul_f16_sdwa v25, v12, v4 dst_sel:DWORD dst_unused:UNUSED_PAD src0_sel:DWORD src1_sel:WORD_1
	v_fma_f16 v86, v28, v4, v25
	v_mul_f16_sdwa v25, v28, v4 dst_sel:DWORD dst_unused:UNUSED_PAD src0_sel:DWORD src1_sel:WORD_1
	v_mul_f16_sdwa v16, v16, v8 dst_sel:DWORD dst_unused:UNUSED_PAD src0_sel:DWORD src1_sel:WORD_1
	;; [unrolled: 1-line block ×3, first 2 shown]
	v_fma_f16 v12, v12, v4, -v25
	v_fma_f16 v16, v26, v8, v16
	v_fma_f16 v14, v27, v2, v14
	v_sub_f16_e32 v27, v29, v84
	v_sub_f16_e32 v28, v12, v85
	ds_read2st64_b32 v[25:26], v33 offset0:12 offset1:14
	v_add_f16_e32 v87, v27, v28
	v_sub_f16_e32 v27, v21, v16
	v_sub_f16_e32 v28, v86, v14
	v_add_f16_e32 v88, v27, v28
	ds_read2st64_b32 v[27:28], v33 offset0:20 offset1:22
	s_waitcnt lgkmcnt(1)
	v_lshrrev_b32_e32 v52, 16, v25
	v_mul_f16_sdwa v53, v25, v7 dst_sel:DWORD dst_unused:UNUSED_PAD src0_sel:DWORD src1_sel:WORD_1
	v_fma_f16 v89, v52, v7, v53
	v_mul_f16_sdwa v52, v52, v7 dst_sel:DWORD dst_unused:UNUSED_PAD src0_sel:DWORD src1_sel:WORD_1
	v_fma_f16 v25, v25, v7, -v52
	s_waitcnt lgkmcnt(0)
	v_lshrrev_b32_e32 v78, 16, v27
	ds_read2st64_b32 v[52:53], v33 offset0:28 offset1:30
	v_mul_f16_sdwa v79, v27, v1 dst_sel:DWORD dst_unused:UNUSED_PAD src0_sel:DWORD src1_sel:WORD_1
	v_fma_f16 v90, v78, v1, v79
	v_mul_f16_sdwa v78, v78, v1 dst_sel:DWORD dst_unused:UNUSED_PAD src0_sel:DWORD src1_sel:WORD_1
	v_fma_f16 v27, v27, v1, -v78
	ds_read2st64_b32 v[78:79], v33 offset0:36 offset1:38
	s_waitcnt lgkmcnt(1)
	v_lshrrev_b32_e32 v80, 16, v52
	v_mul_f16_sdwa v81, v52, v3 dst_sel:DWORD dst_unused:UNUSED_PAD src0_sel:DWORD src1_sel:WORD_1
	v_fma_f16 v91, v80, v3, v81
	v_mul_f16_sdwa v80, v80, v3 dst_sel:DWORD dst_unused:UNUSED_PAD src0_sel:DWORD src1_sel:WORD_1
	v_fma_f16 v92, v52, v3, -v80
	s_waitcnt lgkmcnt(0)
	v_lshrrev_b32_e32 v52, 16, v78
	s_waitcnt vmcnt(0)
	v_mul_f16_sdwa v80, v78, v64 dst_sel:DWORD dst_unused:UNUSED_PAD src0_sel:DWORD src1_sel:WORD_1
	v_fma_f16 v93, v52, v64, v80
	ds_read2st64_b32 v[80:81], v33 offset0:4 offset1:6
	v_mul_f16_sdwa v52, v52, v64 dst_sel:DWORD dst_unused:UNUSED_PAD src0_sel:DWORD src1_sel:WORD_1
	v_fma_f16 v78, v78, v64, -v52
	v_sub_f16_e32 v52, v25, v27
	v_sub_f16_e32 v82, v78, v92
	v_add_f16_e32 v94, v52, v82
	v_sub_f16_e32 v52, v89, v90
	v_sub_f16_e32 v82, v93, v91
	v_add_f16_e32 v95, v52, v82
	s_waitcnt lgkmcnt(0)
	v_lshrrev_b32_e32 v52, 16, v80
	v_mul_f16_sdwa v82, v80, v5 dst_sel:DWORD dst_unused:UNUSED_PAD src0_sel:DWORD src1_sel:WORD_1
	v_fma_f16 v96, v52, v5, v82
	v_add_f16_e32 v82, v90, v91
	v_fma_f16 v100, v82, -0.5, v96
	v_sub_f16_e32 v101, v25, v78
	v_mul_f16_sdwa v52, v52, v5 dst_sel:DWORD dst_unused:UNUSED_PAD src0_sel:DWORD src1_sel:WORD_1
	v_fma_f16 v82, v101, s14, v100
	v_sub_f16_e32 v102, v27, v92
	v_fma_f16 v80, v80, v5, -v52
	v_add_f16_e32 v52, v27, v92
	v_fma_f16 v82, v102, s13, v82
	v_fma_f16 v97, v52, -0.5, v80
	v_sub_f16_e32 v98, v89, v93
	v_fma_f16 v103, v95, s12, v82
	ds_read2st64_b32 v[82:83], v33 offset1:2
	v_fma_f16 v52, v98, s1, v97
	v_sub_f16_e32 v99, v90, v91
	v_fma_f16 v52, v99, s0, v52
	v_fma_f16 v52, v94, s12, v52
	v_mul_f16_e32 v104, 0x38b4, v103
	v_fma_f16 v104, v52, s15, v104
	v_mul_f16_e32 v52, 0xb8b4, v52
	v_fma_f16 v103, v103, s15, v52
	s_waitcnt lgkmcnt(0)
	v_add_f16_e32 v52, v82, v29
	v_add_f16_e32 v52, v52, v84
	;; [unrolled: 1-line block ×3, first 2 shown]
	v_lshrrev_b32_e32 v106, 16, v82
	v_add_f16_e32 v105, v52, v12
	v_add_f16_e32 v52, v106, v21
	;; [unrolled: 1-line block ×15, first 2 shown]
	v_pack_b32_f16 v110, v52, v110
	v_add_f16_e32 v52, v84, v85
	v_sub_f16_e32 v116, v29, v12
	v_sub_f16_e32 v117, v84, v85
	v_sub_f16_e32 v84, v84, v29
	v_add_f16_e32 v29, v29, v12
	v_sub_f16_e32 v113, v16, v14
	v_fma_f16 v29, v29, -0.5, v82
	v_fma_f16 v111, v52, -0.5, v82
	v_sub_f16_e32 v112, v21, v86
	v_sub_f16_e32 v12, v85, v12
	v_fma_f16 v82, v113, s14, v29
	v_fma_f16 v29, v113, s1, v29
	;; [unrolled: 1-line block ×3, first 2 shown]
	v_add_f16_e32 v12, v84, v12
	v_fma_f16 v82, v112, s0, v82
	v_fma_f16 v29, v112, s13, v29
	;; [unrolled: 1-line block ×5, first 2 shown]
	v_add_f16_e32 v29, v21, v86
	v_fma_f16 v114, v87, s12, v52
	v_add_f16_e32 v52, v16, v14
	v_fma_f16 v29, v29, -0.5, v106
	v_sub_f16_e32 v16, v16, v21
	v_sub_f16_e32 v14, v14, v86
	v_add_f16_e32 v14, v16, v14
	v_fma_f16 v16, v117, s1, v29
	v_fma_f16 v21, v117, s14, v29
	v_fma_f16 v16, v116, s13, v16
	v_fma_f16 v21, v116, s0, v21
	v_fma_f16 v16, v14, s12, v16
	v_fma_f16 v14, v14, s12, v21
	v_add_f16_e32 v21, v25, v78
	v_fma_f16 v21, v21, -0.5, v80
	v_sub_f16_e32 v25, v27, v25
	v_sub_f16_e32 v27, v92, v78
	v_add_f16_e32 v25, v25, v27
	v_fma_f16 v27, v99, s14, v21
	v_fma_f16 v21, v99, s1, v21
	v_fma_f16 v27, v98, s0, v27
	v_fma_f16 v21, v98, s13, v21
	v_fma_f16 v27, v25, s12, v27
	;; [unrolled: 11-line block ×3, first 2 shown]
	v_fma_f16 v115, v52, -0.5, v106
	v_fma_f16 v25, v29, s12, v25
	v_mul_f16_e32 v29, 0x3b9c, v78
	v_fma_f16 v52, v116, s14, v115
	v_fma_f16 v29, v27, s12, v29
	v_mul_f16_e32 v27, 0xbb9c, v27
	v_fma_f16 v52, v117, s13, v52
	;; [unrolled: 3-line block ×3, first 2 shown]
	v_fma_f16 v78, v25, s1, v78
	v_mul_f16_e32 v25, 0xb4f2, v25
	v_add_f16_e32 v52, v114, v104
	v_add_f16_e32 v119, v118, v103
	v_fma_f16 v21, v21, s14, v25
	v_add_f16_e32 v25, v82, v29
	v_add_f16_e32 v80, v16, v27
	v_pack_b32_f16 v119, v52, v119
	v_lshrrev_b32_e32 v52, 6, v0
	v_pack_b32_f16 v25, v25, v80
	v_add_f16_e32 v80, v12, v78
	v_add_f16_e32 v84, v14, v21
	v_mul_u32_u24_e32 v52, 0x280, v52
	v_pack_b32_f16 v80, v80, v84
	v_fma_f16 v84, v98, s14, v97
	v_or_b32_e32 v52, v52, v24
	v_fma_f16 v84, v99, s13, v84
	v_fma_f16 v85, v101, s1, v100
	v_lshlrev_b32_e32 v52, 2, v52
	v_fma_f16 v84, v94, s12, v84
	v_fma_f16 v85, v102, s0, v85
	s_barrier
	ds_write2st64_b32 v52, v25, v80 offset0:2 offset1:3
	v_fma_f16 v25, v112, s14, v111
	v_fma_f16 v80, v116, s1, v115
	;; [unrolled: 1-line block ×3, first 2 shown]
	v_mul_f16_e32 v86, 0xba79, v84
	v_fma_f16 v25, v113, s13, v25
	v_fma_f16 v80, v117, s0, v80
	v_fma_f16 v86, v85, s0, v86
	v_mul_f16_e32 v85, 0xba79, v85
	v_fma_f16 v25, v87, s12, v25
	v_fma_f16 v80, v88, s12, v80
	;; [unrolled: 1-line block ×3, first 2 shown]
	v_sub_f16_e32 v85, v105, v108
	v_sub_f16_e32 v87, v107, v109
	v_add_f16_e32 v88, v25, v86
	v_add_f16_e32 v89, v80, v84
	v_pack_b32_f16 v88, v88, v89
	v_pack_b32_f16 v85, v85, v87
	ds_write2st64_b32 v52, v88, v85 offset0:4 offset1:5
	v_sub_f16_e32 v85, v114, v104
	v_sub_f16_e32 v29, v82, v29
	;; [unrolled: 1-line block ×4, first 2 shown]
	v_pack_b32_f16 v27, v85, v82
	v_pack_b32_f16 v16, v29, v16
	ds_write2st64_b32 v52, v27, v16 offset0:6 offset1:7
	v_sub_f16_e32 v12, v12, v78
	v_sub_f16_e32 v16, v25, v86
	;; [unrolled: 1-line block ×4, first 2 shown]
	v_pack_b32_f16 v12, v12, v14
	v_pack_b32_f16 v14, v16, v21
	ds_write2st64_b32 v52, v12, v14 offset0:8 offset1:9
	v_lshrrev_b32_e32 v12, 16, v81
	v_mul_f16_sdwa v16, v81, v5 dst_sel:DWORD dst_unused:UNUSED_PAD src0_sel:DWORD src1_sel:WORD_1
	v_mul_f16_sdwa v14, v12, v5 dst_sel:DWORD dst_unused:UNUSED_PAD src0_sel:DWORD src1_sel:WORD_1
	v_fma_f16 v12, v12, v5, v16
	v_lshrrev_b32_e32 v16, 16, v22
	v_mul_f16_sdwa v21, v16, v6 dst_sel:DWORD dst_unused:UNUSED_PAD src0_sel:DWORD src1_sel:WORD_1
	v_fma_f16 v21, v22, v6, -v21
	v_mul_f16_sdwa v22, v22, v6 dst_sel:DWORD dst_unused:UNUSED_PAD src0_sel:DWORD src1_sel:WORD_1
	v_fma_f16 v16, v16, v6, v22
	v_lshrrev_b32_e32 v22, 16, v26
	v_mul_f16_sdwa v25, v22, v7 dst_sel:DWORD dst_unused:UNUSED_PAD src0_sel:DWORD src1_sel:WORD_1
	v_fma_f16 v25, v26, v7, -v25
	;; [unrolled: 5-line block ×6, first 2 shown]
	v_mul_f16_sdwa v53, v53, v3 dst_sel:DWORD dst_unused:UNUSED_PAD src0_sel:DWORD src1_sel:WORD_1
	v_fma_f16 v28, v28, v3, v53
	v_lshrrev_b32_e32 v53, 16, v13
	v_fma_f16 v14, v81, v5, -v14
	v_mul_f16_sdwa v81, v53, v4 dst_sel:DWORD dst_unused:UNUSED_PAD src0_sel:DWORD src1_sel:WORD_1
	v_fma_f16 v81, v13, v4, -v81
	v_mul_f16_sdwa v13, v13, v4 dst_sel:DWORD dst_unused:UNUSED_PAD src0_sel:DWORD src1_sel:WORD_1
	v_fma_f16 v13, v53, v4, v13
	v_lshrrev_b32_e32 v53, 16, v79
	v_mul_f16_sdwa v82, v53, v64 dst_sel:DWORD dst_unused:UNUSED_PAD src0_sel:DWORD src1_sel:WORD_1
	v_fma_f16 v82, v79, v64, -v82
	v_mul_f16_sdwa v79, v79, v64 dst_sel:DWORD dst_unused:UNUSED_PAD src0_sel:DWORD src1_sel:WORD_1
	v_fma_f16 v79, v53, v64, v79
	v_add_f16_e32 v53, v27, v78
	v_fma_f16 v84, v53, -0.5, v83
	v_add_f16_e32 v53, v21, v81
	v_fma_f16 v85, v53, -0.5, v83
	v_lshrrev_b32_e32 v86, 16, v83
	v_add_f16_e32 v53, v83, v21
	v_sub_f16_e32 v83, v21, v27
	v_sub_f16_e32 v87, v81, v78
	v_add_f16_e32 v83, v83, v87
	v_sub_f16_e32 v87, v16, v17
	v_sub_f16_e32 v88, v13, v15
	;; [unrolled: 3-line block ×4, first 2 shown]
	v_add_f16_e32 v94, v26, v28
	v_add_f16_e32 v89, v89, v90
	v_add_f16_e32 v90, v29, v80
	v_fma_f16 v94, v94, -0.5, v12
	v_sub_f16_e32 v95, v25, v82
	v_fma_f16 v90, v90, -0.5, v14
	v_sub_f16_e32 v91, v22, v79
	v_fma_f16 v96, v95, s14, v94
	v_sub_f16_e32 v97, v29, v80
	v_fma_f16 v92, v91, s1, v90
	v_sub_f16_e32 v93, v26, v28
	v_fma_f16 v96, v97, s13, v96
	v_fma_f16 v92, v93, s0, v92
	v_fma_f16 v96, v89, s12, v96
	v_add_f16_e32 v24, v53, v27
	v_add_f16_e32 v53, v86, v16
	v_fma_f16 v92, v88, s12, v92
	v_mul_f16_e32 v98, 0x38b4, v96
	v_add_f16_e32 v53, v53, v17
	v_fma_f16 v98, v92, s15, v98
	v_mul_f16_e32 v92, 0xb8b4, v92
	v_add_f16_e32 v53, v53, v15
	v_fma_f16 v92, v96, s15, v92
	v_add_f16_e32 v96, v53, v13
	v_add_f16_e32 v53, v14, v25
	;; [unrolled: 1-line block ×13, first 2 shown]
	v_sub_f16_e32 v102, v16, v13
	v_pack_b32_f16 v101, v53, v101
	v_fma_f16 v53, v102, s1, v84
	v_sub_f16_e32 v103, v17, v15
	v_fma_f16 v53, v103, s0, v53
	v_fma_f16 v104, v83, s12, v53
	v_add_f16_e32 v53, v17, v15
	v_sub_f16_e32 v106, v21, v81
	v_sub_f16_e32 v107, v27, v78
	;; [unrolled: 1-line block ×4, first 2 shown]
	v_add_f16_e32 v81, v16, v13
	v_sub_f16_e32 v16, v17, v16
	v_add_f16_e32 v17, v25, v82
	v_fma_f16 v14, v17, -0.5, v14
	v_sub_f16_e32 v17, v29, v25
	v_add_f16_e32 v29, v22, v79
	v_fma_f16 v12, v29, -0.5, v12
	v_sub_f16_e32 v22, v26, v22
	v_sub_f16_e32 v26, v28, v79
	;; [unrolled: 1-line block ×3, first 2 shown]
	v_add_f16_e32 v22, v22, v26
	v_fma_f16 v26, v97, s1, v12
	v_fma_f16 v81, v81, -0.5, v86
	v_sub_f16_e32 v13, v15, v13
	v_add_f16_e32 v17, v17, v25
	v_fma_f16 v25, v93, s14, v14
	v_fma_f16 v12, v97, s14, v12
	;; [unrolled: 1-line block ×3, first 2 shown]
	v_fma_f16 v105, v53, -0.5, v86
	v_add_f16_e32 v13, v16, v13
	v_fma_f16 v15, v107, s1, v81
	v_fma_f16 v16, v107, s14, v81
	;; [unrolled: 1-line block ×12, first 2 shown]
	v_mul_f16_e32 v22, 0x3b9c, v26
	v_fma_f16 v53, v107, s13, v53
	v_fma_f16 v15, v13, s12, v15
	;; [unrolled: 1-line block ×6, first 2 shown]
	v_mul_f16_e32 v25, 0xbb9c, v25
	v_fma_f16 v108, v87, s12, v53
	v_add_f16_e32 v21, v21, v27
	v_fma_f16 v27, v103, s14, v85
	v_fma_f16 v78, v103, s1, v85
	v_fma_f16 v16, v93, s13, v16
	v_fma_f16 v17, v95, s1, v94
	v_fma_f16 v25, v26, s12, v25
	v_mul_f16_e32 v26, 0xb4f2, v14
	v_add_f16_e32 v53, v104, v98
	v_add_f16_e32 v109, v108, v92
	v_fma_f16 v27, v102, s0, v27
	v_fma_f16 v78, v102, s13, v78
	;; [unrolled: 1-line block ×5, first 2 shown]
	v_mul_f16_e32 v12, 0xb4f2, v12
	v_pack_b32_f16 v109, v53, v109
	v_lshlrev_b32_e32 v53, 2, v23
	v_fma_f16 v23, v102, s14, v84
	v_fma_f16 v27, v21, s12, v27
	;; [unrolled: 1-line block ×6, first 2 shown]
	v_mul_f16_e32 v14, 0xba79, v16
	v_fma_f16 v23, v103, s13, v23
	v_fma_f16 v78, v107, s0, v78
	;; [unrolled: 1-line block ×3, first 2 shown]
	v_mul_f16_e32 v17, 0xba79, v17
	v_fma_f16 v23, v83, s12, v23
	v_fma_f16 v78, v87, s12, v78
	;; [unrolled: 1-line block ×3, first 2 shown]
	v_sub_f16_e32 v17, v24, v99
	v_add_f16_e32 v28, v27, v22
	v_sub_f16_e32 v22, v27, v22
	v_add_f16_e32 v27, v21, v26
	;; [unrolled: 2-line block ×3, first 2 shown]
	v_sub_f16_e32 v14, v23, v14
	v_sub_f16_e32 v23, v96, v100
	v_add_f16_e32 v79, v15, v25
	v_sub_f16_e32 v15, v15, v25
	v_add_f16_e32 v25, v13, v12
	;; [unrolled: 2-line block ×3, first 2 shown]
	v_sub_f16_e32 v24, v104, v98
	v_sub_f16_e32 v29, v108, v92
	v_pack_b32_f16 v28, v28, v79
	v_pack_b32_f16 v25, v27, v25
	;; [unrolled: 1-line block ×4, first 2 shown]
	ds_write2st64_b32 v52, v110, v119 offset1:1
	ds_write2st64_b32 v53, v28, v25 offset0:2 offset1:3
	ds_write2st64_b32 v53, v13, v17 offset0:4 offset1:5
	v_pack_b32_f16 v13, v24, v29
	v_mad_u64_u32 v[24:25], s[2:3], v0, 12, s[2:3]
	v_sub_f16_e32 v16, v78, v16
	v_pack_b32_f16 v15, v22, v15
	ds_write2st64_b32 v53, v13, v15 offset0:6 offset1:7
	v_pack_b32_f16 v12, v21, v12
	v_pack_b32_f16 v13, v14, v16
	ds_write2st64_b32 v53, v101, v109 offset1:1
	ds_write2st64_b32 v53, v12, v13 offset0:8 offset1:9
	s_waitcnt lgkmcnt(0)
	s_barrier
	global_load_dwordx3 v[15:17], v[24:25], off offset:2544
	global_load_dwordx3 v[12:14], v[24:25], off offset:4080
	ds_read2st64_b32 v[28:29], v33 offset0:20 offset1:22
	s_movk_i32 s2, 0x1000
	v_add_co_u32_e32 v26, vcc, s2, v24
	v_addc_co_u32_e32 v27, vcc, 0, v25, vcc
	s_waitcnt lgkmcnt(0)
	v_lshrrev_b32_e32 v78, 16, v28
	global_load_dwordx3 v[21:23], v[26:27], off offset:1520
	v_lshrrev_b32_e32 v79, 16, v29
	ds_read2st64_b32 v[82:83], v33 offset0:28 offset1:30
	s_movk_i32 s2, 0x2000
	s_mov_b32 s3, 0xba79
	s_waitcnt lgkmcnt(0)
	v_lshrrev_b32_e32 v91, 16, v83
	s_waitcnt vmcnt(2)
	v_mul_f16_sdwa v80, v78, v16 dst_sel:DWORD dst_unused:UNUSED_PAD src0_sel:DWORD src1_sel:WORD_1
	v_fma_f16 v80, v28, v16, -v80
	v_mul_f16_sdwa v28, v28, v16 dst_sel:DWORD dst_unused:UNUSED_PAD src0_sel:DWORD src1_sel:WORD_1
	v_fma_f16 v84, v78, v16, v28
	s_waitcnt vmcnt(1)
	v_mul_f16_sdwa v28, v79, v13 dst_sel:DWORD dst_unused:UNUSED_PAD src0_sel:DWORD src1_sel:WORD_1
	v_fma_f16 v81, v29, v13, -v28
	v_mul_f16_sdwa v28, v29, v13 dst_sel:DWORD dst_unused:UNUSED_PAD src0_sel:DWORD src1_sel:WORD_1
	v_fma_f16 v87, v79, v13, v28
	ds_read2st64_b32 v[28:29], v33 offset1:2
	v_add_co_u32_e32 v78, vcc, s2, v24
	v_addc_co_u32_e32 v79, vcc, 0, v25, vcc
	s_waitcnt lgkmcnt(0)
	v_sub_f16_e32 v88, v28, v80
	v_sub_f16_e32 v89, v29, v81
	ds_read2st64_b32 v[80:81], v33 offset0:8 offset1:10
	v_mul_f16_sdwa v92, v83, v17 dst_sel:DWORD dst_unused:UNUSED_PAD src0_sel:DWORD src1_sel:WORD_1
	v_lshrrev_b32_e32 v85, 16, v28
	v_fma_f16 v28, v28, 2.0, -v88
	v_lshrrev_b32_e32 v90, 16, v29
	s_waitcnt lgkmcnt(0)
	v_lshrrev_b32_e32 v24, 16, v81
	v_mul_f16_sdwa v25, v81, v15 dst_sel:DWORD dst_unused:UNUSED_PAD src0_sel:DWORD src1_sel:WORD_1
	v_fma_f16 v86, v24, v15, v25
	v_mul_f16_sdwa v24, v24, v15 dst_sel:DWORD dst_unused:UNUSED_PAD src0_sel:DWORD src1_sel:WORD_1
	v_fma_f16 v81, v81, v15, -v24
	global_load_dwordx3 v[24:26], v[26:27], off offset:3056
	v_fma_f16 v27, v91, v17, v92
	v_mul_f16_sdwa v91, v91, v17 dst_sel:DWORD dst_unused:UNUSED_PAD src0_sel:DWORD src1_sel:WORD_1
	v_fma_f16 v83, v83, v17, -v91
	v_sub_f16_e32 v91, v85, v84
	v_sub_f16_e32 v92, v81, v83
	;; [unrolled: 1-line block ×3, first 2 shown]
	v_fma_f16 v85, v85, 2.0, -v91
	v_fma_f16 v27, v81, 2.0, -v92
	;; [unrolled: 1-line block ×3, first 2 shown]
	v_sub_f16_e32 v27, v28, v27
	ds_read2st64_b32 v[83:84], v33 offset0:12 offset1:14
	v_sub_f16_e32 v81, v85, v81
	v_fma_f16 v28, v28, 2.0, -v27
	v_fma_f16 v85, v85, 2.0, -v81
	v_pack_b32_f16 v28, v28, v85
	ds_read2st64_b32 v[85:86], v33 offset0:32 offset1:34
	s_waitcnt lgkmcnt(1)
	v_lshrrev_b32_e32 v94, 16, v83
	v_mul_f16_sdwa v95, v83, v12 dst_sel:DWORD dst_unused:UNUSED_PAD src0_sel:DWORD src1_sel:WORD_1
	v_fma_f16 v95, v94, v12, v95
	v_mul_f16_sdwa v94, v94, v12 dst_sel:DWORD dst_unused:UNUSED_PAD src0_sel:DWORD src1_sel:WORD_1
	v_fma_f16 v83, v83, v12, -v94
	s_waitcnt lgkmcnt(0)
	v_lshrrev_b32_e32 v94, 16, v85
	v_mul_f16_sdwa v96, v85, v14 dst_sel:DWORD dst_unused:UNUSED_PAD src0_sel:DWORD src1_sel:WORD_1
	v_fma_f16 v96, v94, v14, v96
	v_mul_f16_sdwa v94, v94, v14 dst_sel:DWORD dst_unused:UNUSED_PAD src0_sel:DWORD src1_sel:WORD_1
	v_fma_f16 v85, v85, v14, -v94
	v_sub_f16_e32 v87, v90, v87
	v_sub_f16_e32 v85, v83, v85
	;; [unrolled: 1-line block ×3, first 2 shown]
	v_fma_f16 v29, v29, 2.0, -v89
	v_fma_f16 v90, v90, 2.0, -v87
	;; [unrolled: 1-line block ×4, first 2 shown]
	v_sub_f16_e32 v83, v29, v83
	v_sub_f16_e32 v95, v90, v95
	v_fma_f16 v29, v29, 2.0, -v83
	v_fma_f16 v90, v90, 2.0, -v95
	v_pack_b32_f16 v29, v29, v90
	ds_write2st64_b32 v33, v28, v29 offset1:2
	v_pack_b32_f16 v27, v27, v81
	v_pack_b32_f16 v28, v83, v95
	ds_write2st64_b32 v33, v27, v28 offset0:20 offset1:22
	global_load_dwordx3 v[27:29], v[78:79], off offset:496
	v_lshrrev_b32_e32 v81, 16, v84
	s_waitcnt vmcnt(2)
	v_mul_f16_sdwa v78, v84, v21 dst_sel:DWORD dst_unused:UNUSED_PAD src0_sel:DWORD src1_sel:WORD_1
	v_mul_f16_sdwa v83, v81, v21 dst_sel:DWORD dst_unused:UNUSED_PAD src0_sel:DWORD src1_sel:WORD_1
	v_fma_f16 v81, v81, v21, v78
	v_lshrrev_b32_e32 v78, 16, v86
	v_mul_f16_sdwa v79, v78, v23 dst_sel:DWORD dst_unused:UNUSED_PAD src0_sel:DWORD src1_sel:WORD_1
	v_fma_f16 v95, v86, v23, -v79
	v_mul_f16_sdwa v79, v86, v23 dst_sel:DWORD dst_unused:UNUSED_PAD src0_sel:DWORD src1_sel:WORD_1
	v_fma_f16 v86, v78, v23, v79
	v_sub_f16_e32 v94, v89, v94
	ds_read2st64_b32 v[78:79], v33 offset0:24 offset1:26
	v_add_f16_e32 v85, v87, v85
	v_fma_f16 v90, v84, v21, -v83
	v_fma_f16 v83, v89, 2.0, -v94
	v_fma_f16 v84, v87, 2.0, -v85
	v_pack_b32_f16 v87, v83, v84
	ds_read2st64_b32 v[83:84], v33 offset0:4 offset1:6
	s_waitcnt lgkmcnt(1)
	v_lshrrev_b32_e32 v89, 16, v78
	v_mul_f16_sdwa v96, v78, v22 dst_sel:DWORD dst_unused:UNUSED_PAD src0_sel:DWORD src1_sel:WORD_1
	v_fma_f16 v96, v89, v22, v96
	v_mul_f16_sdwa v89, v89, v22 dst_sel:DWORD dst_unused:UNUSED_PAD src0_sel:DWORD src1_sel:WORD_1
	v_fma_f16 v78, v78, v22, -v89
	s_waitcnt lgkmcnt(0)
	v_lshrrev_b32_e32 v89, 16, v83
	v_sub_f16_e32 v78, v83, v78
	v_sub_f16_e32 v96, v89, v96
	;; [unrolled: 1-line block ×5, first 2 shown]
	v_add_f16_e32 v98, v96, v95
	v_fma_f16 v99, v78, 2.0, -v97
	v_fma_f16 v100, v96, 2.0, -v98
	v_pack_b32_f16 v99, v99, v100
	ds_write2st64_b32 v33, v87, v99 offset0:12 offset1:14
	v_pack_b32_f16 v85, v94, v85
	v_pack_b32_f16 v87, v97, v98
	ds_write2st64_b32 v33, v85, v87 offset0:32 offset1:34
	v_lshrrev_b32_e32 v85, 16, v79
	s_waitcnt vmcnt(1)
	v_mul_f16_sdwa v87, v85, v25 dst_sel:DWORD dst_unused:UNUSED_PAD src0_sel:DWORD src1_sel:WORD_1
	v_fma_f16 v87, v79, v25, -v87
	v_mul_f16_sdwa v79, v79, v25 dst_sel:DWORD dst_unused:UNUSED_PAD src0_sel:DWORD src1_sel:WORD_1
	v_fma_f16 v85, v85, v25, v79
	v_fma_f16 v89, v89, 2.0, -v96
	v_fma_f16 v79, v90, 2.0, -v95
	;; [unrolled: 1-line block ×4, first 2 shown]
	v_sub_f16_e32 v86, v84, v87
	v_sub_f16_e32 v94, v83, v79
	ds_read2st64_b32 v[78:79], v33 offset0:16 offset1:18
	v_sub_f16_e32 v81, v89, v81
	v_lshrrev_b32_e32 v87, 16, v84
	v_fma_f16 v90, v84, 2.0, -v86
	v_fma_f16 v83, v83, 2.0, -v94
	;; [unrolled: 1-line block ×3, first 2 shown]
	v_pack_b32_f16 v89, v83, v84
	ds_read2st64_b32 v[83:84], v33 offset0:36 offset1:38
	s_waitcnt lgkmcnt(1)
	v_lshrrev_b32_e32 v95, 16, v78
	v_mul_f16_sdwa v96, v78, v24 dst_sel:DWORD dst_unused:UNUSED_PAD src0_sel:DWORD src1_sel:WORD_1
	v_fma_f16 v96, v95, v24, v96
	v_mul_f16_sdwa v95, v95, v24 dst_sel:DWORD dst_unused:UNUSED_PAD src0_sel:DWORD src1_sel:WORD_1
	v_fma_f16 v78, v78, v24, -v95
	s_waitcnt lgkmcnt(0)
	v_lshrrev_b32_e32 v95, 16, v83
	v_mul_f16_sdwa v97, v83, v26 dst_sel:DWORD dst_unused:UNUSED_PAD src0_sel:DWORD src1_sel:WORD_1
	v_fma_f16 v97, v95, v26, v97
	v_mul_f16_sdwa v95, v95, v26 dst_sel:DWORD dst_unused:UNUSED_PAD src0_sel:DWORD src1_sel:WORD_1
	v_fma_f16 v83, v83, v26, -v95
	v_sub_f16_e32 v85, v87, v85
	v_sub_f16_e32 v83, v78, v83
	;; [unrolled: 1-line block ×3, first 2 shown]
	v_fma_f16 v87, v87, 2.0, -v85
	v_fma_f16 v78, v78, 2.0, -v83
	;; [unrolled: 1-line block ×3, first 2 shown]
	v_sub_f16_e32 v78, v90, v78
	v_sub_f16_e32 v96, v87, v96
	v_fma_f16 v90, v90, 2.0, -v78
	v_pack_b32_f16 v81, v94, v81
	v_pack_b32_f16 v78, v78, v96
	ds_write2st64_b32 v33, v81, v78 offset0:24 offset1:26
	v_lshrrev_b32_e32 v78, 16, v79
	v_fma_f16 v87, v87, 2.0, -v96
	s_waitcnt vmcnt(0)
	v_mul_f16_sdwa v81, v78, v27 dst_sel:DWORD dst_unused:UNUSED_PAD src0_sel:DWORD src1_sel:WORD_1
	v_fma_f16 v81, v79, v27, -v81
	v_mul_f16_sdwa v79, v79, v27 dst_sel:DWORD dst_unused:UNUSED_PAD src0_sel:DWORD src1_sel:WORD_1
	v_pack_b32_f16 v87, v90, v87
	v_fma_f16 v78, v78, v27, v79
	v_lshrrev_b32_e32 v79, 16, v82
	ds_write2st64_b32 v33, v89, v87 offset0:4 offset1:6
	v_mul_f16_sdwa v87, v79, v28 dst_sel:DWORD dst_unused:UNUSED_PAD src0_sel:DWORD src1_sel:WORD_1
	v_fma_f16 v87, v82, v28, -v87
	v_mul_f16_sdwa v82, v82, v28 dst_sel:DWORD dst_unused:UNUSED_PAD src0_sel:DWORD src1_sel:WORD_1
	v_fma_f16 v79, v79, v28, v82
	v_lshrrev_b32_e32 v82, 16, v84
	v_mul_f16_sdwa v89, v82, v29 dst_sel:DWORD dst_unused:UNUSED_PAD src0_sel:DWORD src1_sel:WORD_1
	v_fma_f16 v89, v84, v29, -v89
	v_mul_f16_sdwa v84, v84, v29 dst_sel:DWORD dst_unused:UNUSED_PAD src0_sel:DWORD src1_sel:WORD_1
	v_fma_f16 v82, v82, v29, v84
	v_sub_f16_e32 v84, v80, v87
	v_lshrrev_b32_e32 v87, 16, v80
	v_sub_f16_e32 v79, v87, v79
	v_sub_f16_e32 v89, v81, v89
	v_sub_f16_e32 v82, v78, v82
	v_fma_f16 v80, v80, 2.0, -v84
	v_fma_f16 v87, v87, 2.0, -v79
	;; [unrolled: 1-line block ×4, first 2 shown]
	v_sub_f16_e32 v90, v88, v93
	v_add_f16_e32 v92, v91, v92
	v_sub_f16_e32 v81, v80, v81
	v_sub_f16_e32 v78, v87, v78
	v_fma_f16 v88, v88, 2.0, -v90
	v_fma_f16 v91, v91, 2.0, -v92
	;; [unrolled: 1-line block ×4, first 2 shown]
	v_pack_b32_f16 v88, v88, v91
	v_pack_b32_f16 v80, v80, v87
	ds_write2st64_b32 v33, v80, v88 offset0:8 offset1:10
	v_sub_f16_e32 v80, v86, v95
	v_add_f16_e32 v83, v85, v83
	v_fma_f16 v86, v86, 2.0, -v80
	v_fma_f16 v85, v85, 2.0, -v83
	v_pack_b32_f16 v85, v86, v85
	v_sub_f16_e32 v82, v84, v82
	v_add_f16_e32 v86, v79, v89
	v_fma_f16 v84, v84, 2.0, -v82
	v_fma_f16 v79, v79, 2.0, -v86
	v_pack_b32_f16 v79, v84, v79
	ds_write2st64_b32 v33, v85, v79 offset0:16 offset1:18
	v_pack_b32_f16 v79, v90, v92
	v_pack_b32_f16 v78, v81, v78
	ds_write2st64_b32 v33, v78, v79 offset0:28 offset1:30
	v_pack_b32_f16 v78, v80, v83
	v_pack_b32_f16 v79, v82, v86
	ds_write2st64_b32 v33, v78, v79 offset0:36 offset1:38
	s_waitcnt lgkmcnt(0)
	s_barrier
	global_load_dword v80, v33, s[6:7]
	global_load_dword v81, v33, s[6:7] offset:512
	global_load_dword v82, v56, s[6:7]
	global_load_dword v83, v58, s[6:7]
	global_load_dword v84, v33, s[6:7] offset:3072
	global_load_dword v85, v33, s[6:7] offset:3584
	global_load_dword v86, v71, s[6:7]
	global_load_dword v87, v73, s[6:7]
	global_load_dword v88, v33, s[6:7] offset:1024
	global_load_dword v89, v33, s[6:7] offset:1536
	ds_read2st64_b32 v[78:79], v33 offset1:2
	global_load_dword v73, v74, s[6:7]
	global_load_dword v90, v75, s[6:7]
	;; [unrolled: 1-line block ×3, first 2 shown]
	s_nop 0
	global_load_dword v74, v33, s[6:7] offset:2048
	global_load_dword v75, v33, s[6:7] offset:2560
	s_mov_b32 s2, 0xb4f2
	global_load_dword v63, v63, s[6:7]
	s_waitcnt lgkmcnt(0)
	v_lshrrev_b32_e32 v56, 16, v78
	s_waitcnt vmcnt(15)
	v_mul_f16_sdwa v71, v78, v80 dst_sel:DWORD dst_unused:UNUSED_PAD src0_sel:DWORD src1_sel:WORD_1
	v_fma_f16 v91, v56, v80, v71
	v_lshrrev_b32_e32 v71, 16, v79
	v_mul_f16_sdwa v56, v56, v80 dst_sel:DWORD dst_unused:UNUSED_PAD src0_sel:DWORD src1_sel:WORD_1
	s_waitcnt vmcnt(14)
	v_mul_f16_sdwa v72, v71, v81 dst_sel:DWORD dst_unused:UNUSED_PAD src0_sel:DWORD src1_sel:WORD_1
	v_fma_f16 v56, v78, v80, -v56
	v_fma_f16 v78, v79, v81, -v72
	v_mul_f16_sdwa v72, v79, v81 dst_sel:DWORD dst_unused:UNUSED_PAD src0_sel:DWORD src1_sel:WORD_1
	v_fma_f16 v79, v71, v81, v72
	ds_read2st64_b32 v[71:72], v33 offset0:20 offset1:22
	v_pack_b32_f16 v56, v56, v91
	v_pack_b32_f16 v78, v78, v79
	ds_write2st64_b32 v33, v56, v78 offset1:2
	global_load_dword v78, v55, s[6:7]
	s_waitcnt lgkmcnt(1)
	v_lshrrev_b32_e32 v55, 16, v71
	s_waitcnt vmcnt(14)
	v_mul_f16_sdwa v56, v71, v82 dst_sel:DWORD dst_unused:UNUSED_PAD src0_sel:DWORD src1_sel:WORD_1
	v_fma_f16 v79, v55, v82, v56
	v_mul_f16_sdwa v55, v55, v82 dst_sel:DWORD dst_unused:UNUSED_PAD src0_sel:DWORD src1_sel:WORD_1
	v_lshrrev_b32_e32 v80, 16, v72
	v_fma_f16 v71, v71, v82, -v55
	s_waitcnt vmcnt(13)
	v_mul_f16_sdwa v55, v80, v83 dst_sel:DWORD dst_unused:UNUSED_PAD src0_sel:DWORD src1_sel:WORD_1
	v_fma_f16 v81, v72, v83, -v55
	ds_read2st64_b32 v[55:56], v33 offset0:12 offset1:14
	v_mul_f16_sdwa v72, v72, v83 dst_sel:DWORD dst_unused:UNUSED_PAD src0_sel:DWORD src1_sel:WORD_1
	v_fma_f16 v72, v80, v83, v72
	v_pack_b32_f16 v71, v71, v79
	v_pack_b32_f16 v72, v81, v72
	ds_write2st64_b32 v33, v71, v72 offset0:20 offset1:22
	s_waitcnt lgkmcnt(1)
	v_lshrrev_b32_e32 v71, 16, v55
	s_waitcnt vmcnt(12)
	v_mul_f16_sdwa v72, v55, v84 dst_sel:DWORD dst_unused:UNUSED_PAD src0_sel:DWORD src1_sel:WORD_1
	v_fma_f16 v72, v71, v84, v72
	v_mul_f16_sdwa v71, v71, v84 dst_sel:DWORD dst_unused:UNUSED_PAD src0_sel:DWORD src1_sel:WORD_1
	v_fma_f16 v71, v55, v84, -v71
	v_lshrrev_b32_e32 v55, 16, v56
	s_waitcnt vmcnt(11)
	v_mul_f16_sdwa v79, v55, v85 dst_sel:DWORD dst_unused:UNUSED_PAD src0_sel:DWORD src1_sel:WORD_1
	v_fma_f16 v79, v56, v85, -v79
	v_mul_f16_sdwa v56, v56, v85 dst_sel:DWORD dst_unused:UNUSED_PAD src0_sel:DWORD src1_sel:WORD_1
	global_load_dword v80, v59, s[6:7]
	v_pack_b32_f16 v71, v71, v72
	global_load_dword v72, v62, s[6:7]
	v_fma_f16 v59, v55, v85, v56
	v_pack_b32_f16 v59, v79, v59
	ds_write2st64_b32 v33, v71, v59 offset0:12 offset1:14
	global_load_dword v71, v61, s[6:7]
	ds_read2st64_b32 v[55:56], v33 offset0:32 offset1:34
	s_movk_i32 s6, 0x1ff
	s_movk_i32 s7, 0xffe
	s_waitcnt lgkmcnt(0)
	v_lshrrev_b32_e32 v59, 16, v55
	s_waitcnt vmcnt(13)
	v_mul_f16_sdwa v61, v55, v86 dst_sel:DWORD dst_unused:UNUSED_PAD src0_sel:DWORD src1_sel:WORD_1
	v_fma_f16 v61, v59, v86, v61
	v_mul_f16_sdwa v59, v59, v86 dst_sel:DWORD dst_unused:UNUSED_PAD src0_sel:DWORD src1_sel:WORD_1
	v_fma_f16 v59, v55, v86, -v59
	v_lshrrev_b32_e32 v55, 16, v56
	s_waitcnt vmcnt(12)
	v_mul_f16_sdwa v62, v55, v87 dst_sel:DWORD dst_unused:UNUSED_PAD src0_sel:DWORD src1_sel:WORD_1
	v_fma_f16 v62, v56, v87, -v62
	v_mul_f16_sdwa v56, v56, v87 dst_sel:DWORD dst_unused:UNUSED_PAD src0_sel:DWORD src1_sel:WORD_1
	v_fma_f16 v79, v55, v87, v56
	ds_read2st64_b32 v[55:56], v33 offset0:4 offset1:6
	v_pack_b32_f16 v59, v59, v61
	v_pack_b32_f16 v61, v62, v79
	ds_write2st64_b32 v33, v59, v61 offset0:32 offset1:34
	s_waitcnt lgkmcnt(1)
	v_lshrrev_b32_e32 v59, 16, v55
	s_waitcnt vmcnt(11)
	v_mul_f16_sdwa v61, v55, v88 dst_sel:DWORD dst_unused:UNUSED_PAD src0_sel:DWORD src1_sel:WORD_1
	v_fma_f16 v61, v59, v88, v61
	v_mul_f16_sdwa v59, v59, v88 dst_sel:DWORD dst_unused:UNUSED_PAD src0_sel:DWORD src1_sel:WORD_1
	v_lshrrev_b32_e32 v62, 16, v56
	v_fma_f16 v59, v55, v88, -v59
	s_waitcnt vmcnt(10)
	v_mul_f16_sdwa v55, v62, v89 dst_sel:DWORD dst_unused:UNUSED_PAD src0_sel:DWORD src1_sel:WORD_1
	v_fma_f16 v79, v56, v89, -v55
	v_mul_f16_sdwa v81, v56, v89 dst_sel:DWORD dst_unused:UNUSED_PAD src0_sel:DWORD src1_sel:WORD_1
	ds_read2st64_b32 v[55:56], v33 offset0:24 offset1:26
	v_fma_f16 v62, v62, v89, v81
	v_pack_b32_f16 v59, v59, v61
	v_pack_b32_f16 v61, v79, v62
	ds_write2st64_b32 v33, v59, v61 offset0:4 offset1:6
	s_waitcnt lgkmcnt(1)
	v_lshrrev_b32_e32 v59, 16, v55
	s_waitcnt vmcnt(7)
	v_mul_f16_sdwa v61, v55, v58 dst_sel:DWORD dst_unused:UNUSED_PAD src0_sel:DWORD src1_sel:WORD_1
	v_fma_f16 v61, v59, v58, v61
	v_mul_f16_sdwa v59, v59, v58 dst_sel:DWORD dst_unused:UNUSED_PAD src0_sel:DWORD src1_sel:WORD_1
	v_fma_f16 v62, v55, v58, -v59
	ds_read2st64_b32 v[58:59], v33 offset0:8 offset1:10
	v_lshrrev_b32_e32 v55, 16, v56
	v_mul_f16_sdwa v79, v55, v90 dst_sel:DWORD dst_unused:UNUSED_PAD src0_sel:DWORD src1_sel:WORD_1
	v_fma_f16 v79, v56, v90, -v79
	v_mul_f16_sdwa v56, v56, v90 dst_sel:DWORD dst_unused:UNUSED_PAD src0_sel:DWORD src1_sel:WORD_1
	v_fma_f16 v81, v55, v90, v56
	s_waitcnt lgkmcnt(0)
	v_lshrrev_b32_e32 v55, 16, v59
	s_waitcnt vmcnt(5)
	v_mul_f16_sdwa v56, v59, v75 dst_sel:DWORD dst_unused:UNUSED_PAD src0_sel:DWORD src1_sel:WORD_1
	v_fma_f16 v82, v55, v75, v56
	v_mul_f16_sdwa v55, v55, v75 dst_sel:DWORD dst_unused:UNUSED_PAD src0_sel:DWORD src1_sel:WORD_1
	v_fma_f16 v59, v59, v75, -v55
	ds_read2st64_b32 v[55:56], v33 offset0:28 offset1:30
	v_pack_b32_f16 v61, v62, v61
	v_pack_b32_f16 v62, v79, v81
	ds_write2st64_b32 v33, v61, v62 offset0:24 offset1:26
	v_pack_b32_f16 v75, v59, v82
	s_waitcnt lgkmcnt(1)
	v_lshrrev_b32_e32 v59, 16, v56
	s_waitcnt vmcnt(3)
	v_mul_f16_sdwa v61, v56, v78 dst_sel:DWORD dst_unused:UNUSED_PAD src0_sel:DWORD src1_sel:WORD_1
	v_fma_f16 v61, v59, v78, v61
	v_mul_f16_sdwa v59, v59, v78 dst_sel:DWORD dst_unused:UNUSED_PAD src0_sel:DWORD src1_sel:WORD_1
	v_fma_f16 v56, v56, v78, -v59
	v_pack_b32_f16 v56, v56, v61
	ds_read2st64_b32 v[61:62], v33 offset0:16 offset1:18
	v_lshrrev_b32_e32 v59, 16, v58
	v_mul_f16_sdwa v78, v59, v74 dst_sel:DWORD dst_unused:UNUSED_PAD src0_sel:DWORD src1_sel:WORD_1
	v_fma_f16 v78, v58, v74, -v78
	v_mul_f16_sdwa v58, v58, v74 dst_sel:DWORD dst_unused:UNUSED_PAD src0_sel:DWORD src1_sel:WORD_1
	v_fma_f16 v74, v59, v74, v58
	s_waitcnt lgkmcnt(0)
	v_lshrrev_b32_e32 v58, 16, v61
	v_mul_f16_sdwa v59, v61, v73 dst_sel:DWORD dst_unused:UNUSED_PAD src0_sel:DWORD src1_sel:WORD_1
	v_fma_f16 v79, v58, v73, v59
	v_mul_f16_sdwa v81, v58, v73 dst_sel:DWORD dst_unused:UNUSED_PAD src0_sel:DWORD src1_sel:WORD_1
	ds_read2st64_b32 v[58:59], v33 offset0:36 offset1:38
	v_fma_f16 v61, v61, v73, -v81
	v_pack_b32_f16 v73, v78, v74
	ds_write2st64_b32 v33, v73, v75 offset0:8 offset1:10
	v_pack_b32_f16 v61, v61, v79
	s_waitcnt lgkmcnt(1)
	v_lshrrev_b32_e32 v73, 16, v58
	s_waitcnt vmcnt(2)
	v_mul_f16_sdwa v74, v58, v80 dst_sel:DWORD dst_unused:UNUSED_PAD src0_sel:DWORD src1_sel:WORD_1
	v_fma_f16 v74, v73, v80, v74
	v_mul_f16_sdwa v73, v73, v80 dst_sel:DWORD dst_unused:UNUSED_PAD src0_sel:DWORD src1_sel:WORD_1
	v_fma_f16 v58, v58, v80, -v73
	v_lshrrev_b32_e32 v73, 16, v62
	v_pack_b32_f16 v58, v58, v74
	s_waitcnt vmcnt(0)
	v_mul_f16_sdwa v74, v73, v71 dst_sel:DWORD dst_unused:UNUSED_PAD src0_sel:DWORD src1_sel:WORD_1
	v_fma_f16 v74, v62, v71, -v74
	v_mul_f16_sdwa v62, v62, v71 dst_sel:DWORD dst_unused:UNUSED_PAD src0_sel:DWORD src1_sel:WORD_1
	v_fma_f16 v62, v73, v71, v62
	v_pack_b32_f16 v62, v74, v62
	ds_write2st64_b32 v33, v61, v62 offset0:16 offset1:18
	v_lshrrev_b32_e32 v61, 16, v55
	v_mul_f16_sdwa v62, v61, v72 dst_sel:DWORD dst_unused:UNUSED_PAD src0_sel:DWORD src1_sel:WORD_1
	v_fma_f16 v62, v55, v72, -v62
	v_mul_f16_sdwa v55, v55, v72 dst_sel:DWORD dst_unused:UNUSED_PAD src0_sel:DWORD src1_sel:WORD_1
	v_fma_f16 v55, v61, v72, v55
	v_pack_b32_f16 v55, v62, v55
	ds_write2st64_b32 v33, v55, v56 offset0:28 offset1:30
	v_lshrrev_b32_e32 v55, 16, v59
	v_mul_f16_sdwa v56, v55, v63 dst_sel:DWORD dst_unused:UNUSED_PAD src0_sel:DWORD src1_sel:WORD_1
	v_fma_f16 v56, v59, v63, -v56
	v_mul_f16_sdwa v59, v59, v63 dst_sel:DWORD dst_unused:UNUSED_PAD src0_sel:DWORD src1_sel:WORD_1
	v_fma_f16 v55, v55, v63, v59
	v_pack_b32_f16 v55, v56, v55
	ds_write2st64_b32 v33, v58, v55 offset0:36 offset1:38
	s_waitcnt lgkmcnt(0)
	s_barrier
	ds_read2st64_b32 v[55:56], v33 offset1:2
	ds_read2st64_b32 v[58:59], v33 offset0:8 offset1:10
	ds_read2st64_b32 v[61:62], v33 offset0:20 offset1:22
	;; [unrolled: 1-line block ×3, first 2 shown]
	s_waitcnt lgkmcnt(1)
	v_pk_add_f16 v61, v55, v61 neg_lo:[0,1] neg_hi:[0,1]
	s_waitcnt lgkmcnt(0)
	v_pk_add_f16 v63, v59, v79 neg_lo:[0,1] neg_hi:[0,1]
	v_lshrrev_b32_e32 v72, 16, v61
	v_add_f16_sdwa v71, v61, v63 dst_sel:DWORD dst_unused:UNUSED_PAD src0_sel:DWORD src1_sel:WORD_1
	v_sub_f16_e32 v73, v72, v63
	v_pk_fma_f16 v55, v55, 2.0, v61 op_sel_hi:[1,0,1] neg_lo:[0,0,1] neg_hi:[0,0,1]
	v_pk_fma_f16 v59, v59, 2.0, v63 op_sel_hi:[1,0,1] neg_lo:[0,0,1] neg_hi:[0,0,1]
	v_fma_f16 v72, v72, 2.0, -v73
	v_pack_b32_f16 v74, v71, v73
	v_pk_add_f16 v73, v55, v59 neg_lo:[0,1] neg_hi:[0,1]
	v_fma_f16 v75, v61, 2.0, -v71
	v_pk_fma_f16 v71, v55, 2.0, v73 op_sel_hi:[1,0,1] neg_lo:[0,0,1] neg_hi:[0,0,1]
	ds_read2st64_b32 v[79:80], v33 offset0:12 offset1:14
	ds_read2st64_b32 v[81:82], v33 offset0:32 offset1:34
	;; [unrolled: 1-line block ×6, first 2 shown]
	v_pk_add_f16 v55, v56, v62 neg_lo:[0,1] neg_hi:[0,1]
	s_waitcnt lgkmcnt(4)
	v_pk_add_f16 v59, v79, v81 neg_lo:[0,1] neg_hi:[0,1]
	v_lshrrev_b32_e32 v62, 16, v55
	v_add_f16_sdwa v61, v55, v59 dst_sel:DWORD dst_unused:UNUSED_PAD src0_sel:DWORD src1_sel:WORD_1
	v_sub_f16_e32 v63, v62, v59
	v_pack_b32_f16 v72, v75, v72
	v_pk_fma_f16 v56, v56, 2.0, v55 op_sel_hi:[1,0,1] neg_lo:[0,0,1] neg_hi:[0,0,1]
	v_fma_f16 v55, v55, 2.0, -v61
	v_fma_f16 v62, v62, 2.0, -v63
	s_waitcnt lgkmcnt(0)
	s_barrier
	ds_write_b128 v54, v[71:74]
	v_pack_b32_f16 v72, v55, v62
	v_pk_fma_f16 v55, v79, 2.0, v59 op_sel_hi:[1,0,1] neg_lo:[0,0,1] neg_hi:[0,0,1]
	v_pk_add_f16 v59, v83, v85 neg_lo:[0,1] neg_hi:[0,1]
	v_pk_add_f16 v73, v56, v55 neg_lo:[0,1] neg_hi:[0,1]
	;; [unrolled: 1-line block ×3, first 2 shown]
	v_lshrrev_b32_e32 v62, 16, v59
	v_pack_b32_f16 v74, v61, v63
	v_pk_fma_f16 v71, v56, 2.0, v73 op_sel_hi:[1,0,1] neg_lo:[0,0,1] neg_hi:[0,0,1]
	v_pk_fma_f16 v56, v80, 2.0, v55 op_sel_hi:[1,0,1] neg_lo:[0,0,1] neg_hi:[0,0,1]
	v_add_f16_sdwa v61, v59, v55 dst_sel:DWORD dst_unused:UNUSED_PAD src0_sel:DWORD src1_sel:WORD_1
	v_sub_f16_e32 v55, v62, v55
	ds_write_b128 v54, v[71:74] offset:2048
	v_fma_f16 v62, v62, 2.0, -v55
	v_pack_b32_f16 v74, v61, v55
	v_pk_fma_f16 v55, v83, 2.0, v59 op_sel_hi:[1,0,1] neg_lo:[0,0,1] neg_hi:[0,0,1]
	v_pk_add_f16 v73, v55, v56 neg_lo:[0,1] neg_hi:[0,1]
	v_fma_f16 v63, v59, 2.0, -v61
	v_pk_fma_f16 v71, v55, 2.0, v73 op_sel_hi:[1,0,1] neg_lo:[0,0,1] neg_hi:[0,0,1]
	v_pk_add_f16 v55, v84, v86 neg_lo:[0,1] neg_hi:[0,1]
	v_pk_add_f16 v59, v87, v89 neg_lo:[0,1] neg_hi:[0,1]
	v_pack_b32_f16 v72, v63, v62
	v_pk_fma_f16 v56, v84, 2.0, v55 op_sel_hi:[1,0,1] neg_lo:[0,0,1] neg_hi:[0,0,1]
	v_pk_fma_f16 v61, v87, 2.0, v59 op_sel_hi:[1,0,1] neg_lo:[0,0,1] neg_hi:[0,0,1]
	ds_write_b128 v54, v[71:74] offset:4096
	v_pk_add_f16 v73, v56, v61 neg_lo:[0,1] neg_hi:[0,1]
	v_lshrrev_b32_e32 v63, 16, v55
	v_pk_fma_f16 v71, v56, 2.0, v73 op_sel_hi:[1,0,1] neg_lo:[0,0,1] neg_hi:[0,0,1]
	v_pk_add_f16 v56, v58, v78 neg_lo:[0,1] neg_hi:[0,1]
	v_add_f16_sdwa v61, v55, v59 dst_sel:DWORD dst_unused:UNUSED_PAD src0_sel:DWORD src1_sel:WORD_1
	v_pk_add_f16 v62, v88, v90 neg_lo:[0,1] neg_hi:[0,1]
	v_sub_f16_e32 v59, v63, v59
	v_pk_fma_f16 v58, v58, 2.0, v56 op_sel_hi:[1,0,1] neg_lo:[0,0,1] neg_hi:[0,0,1]
	v_fma_f16 v55, v55, 2.0, -v61
	v_fma_f16 v63, v63, 2.0, -v59
	v_pk_fma_f16 v72, v88, 2.0, v62 op_sel_hi:[1,0,1] neg_lo:[0,0,1] neg_hi:[0,0,1]
	v_pk_add_f16 v80, v58, v72 neg_lo:[0,1] neg_hi:[0,1]
	v_pack_b32_f16 v72, v55, v63
	v_lshrrev_b32_e32 v55, 16, v56
	v_pack_b32_f16 v74, v61, v59
	v_pk_fma_f16 v78, v58, 2.0, v80 op_sel_hi:[1,0,1] neg_lo:[0,0,1] neg_hi:[0,0,1]
	v_add_f16_sdwa v58, v56, v62 dst_sel:DWORD dst_unused:UNUSED_PAD src0_sel:DWORD src1_sel:WORD_1
	v_sub_f16_e32 v59, v55, v62
	v_fma_f16 v56, v56, 2.0, -v58
	v_fma_f16 v55, v55, 2.0, -v59
	v_pack_b32_f16 v81, v58, v59
	v_pack_b32_f16 v79, v56, v55
	ds_write_b128 v54, v[71:74] offset:6144
	ds_write_b128 v54, v[78:81] offset:8192
	s_waitcnt lgkmcnt(0)
	s_barrier
	ds_read2st64_b32 v[54:55], v33 offset0:20 offset1:22
	ds_read2st64_b32 v[58:59], v33 offset0:12 offset1:14
	;; [unrolled: 1-line block ×3, first 2 shown]
	s_waitcnt lgkmcnt(2)
	v_lshrrev_b32_e32 v56, 16, v54
	v_mul_f16_sdwa v75, v10, v56 dst_sel:DWORD dst_unused:UNUSED_PAD src0_sel:WORD_1 src1_sel:DWORD
	v_lshrrev_b32_e32 v71, 16, v55
	v_fma_f16 v75, v10, v54, v75
	v_mul_f16_sdwa v54, v10, v54 dst_sel:DWORD dst_unused:UNUSED_PAD src0_sel:WORD_1 src1_sel:DWORD
	v_fma_f16 v78, v10, v56, -v54
	v_mul_f16_sdwa v54, v10, v71 dst_sel:DWORD dst_unused:UNUSED_PAD src0_sel:WORD_1 src1_sel:DWORD
	s_waitcnt lgkmcnt(1)
	v_lshrrev_b32_e32 v63, 16, v58
	v_fma_f16 v79, v10, v55, v54
	v_mul_f16_sdwa v54, v10, v55 dst_sel:DWORD dst_unused:UNUSED_PAD src0_sel:WORD_1 src1_sel:DWORD
	v_mul_f16_sdwa v55, v9, v58 dst_sel:DWORD dst_unused:UNUSED_PAD src0_sel:WORD_1 src1_sel:DWORD
	v_lshrrev_b32_e32 v73, 16, v59
	v_fma_f16 v80, v9, v63, -v55
	v_mul_f16_sdwa v55, v9, v63 dst_sel:DWORD dst_unused:UNUSED_PAD src0_sel:WORD_1 src1_sel:DWORD
	s_waitcnt lgkmcnt(0)
	v_lshrrev_b32_e32 v72, 16, v61
	v_fma_f16 v63, v9, v58, v55
	v_fma_f16 v71, v10, v71, -v54
	v_mul_f16_sdwa v54, v9, v73 dst_sel:DWORD dst_unused:UNUSED_PAD src0_sel:WORD_1 src1_sel:DWORD
	v_mul_f16_sdwa v55, v11, v61 dst_sel:DWORD dst_unused:UNUSED_PAD src0_sel:WORD_1 src1_sel:DWORD
	v_fma_f16 v81, v9, v59, v54
	v_mul_f16_sdwa v54, v9, v59 dst_sel:DWORD dst_unused:UNUSED_PAD src0_sel:WORD_1 src1_sel:DWORD
	v_fma_f16 v82, v11, v72, -v55
	v_mul_f16_sdwa v55, v11, v72 dst_sel:DWORD dst_unused:UNUSED_PAD src0_sel:WORD_1 src1_sel:DWORD
	v_fma_f16 v61, v11, v61, v55
	v_fma_f16 v72, v9, v73, -v54
	ds_read2st64_b32 v[54:55], v33 offset0:24 offset1:26
	v_lshrrev_b32_e32 v74, 16, v62
	v_mul_f16_sdwa v56, v11, v74 dst_sel:DWORD dst_unused:UNUSED_PAD src0_sel:WORD_1 src1_sel:DWORD
	v_fma_f16 v73, v11, v62, v56
	v_mul_f16_sdwa v56, v11, v62 dst_sel:DWORD dst_unused:UNUSED_PAD src0_sel:WORD_1 src1_sel:DWORD
	v_fma_f16 v62, v11, v74, -v56
	s_waitcnt lgkmcnt(0)
	v_lshrrev_b32_e32 v56, 16, v54
	v_mul_f16_sdwa v58, v10, v54 dst_sel:DWORD dst_unused:UNUSED_PAD src0_sel:WORD_1 src1_sel:DWORD
	v_fma_f16 v74, v10, v56, -v58
	ds_read2st64_b32 v[58:59], v33 offset0:16 offset1:18
	v_mul_f16_sdwa v56, v10, v56 dst_sel:DWORD dst_unused:UNUSED_PAD src0_sel:WORD_1 src1_sel:DWORD
	v_fma_f16 v83, v10, v54, v56
	v_lshrrev_b32_e32 v54, 16, v55
	v_mul_f16_sdwa v56, v10, v54 dst_sel:DWORD dst_unused:UNUSED_PAD src0_sel:WORD_1 src1_sel:DWORD
	v_fma_f16 v84, v10, v55, v56
	v_mul_f16_sdwa v55, v10, v55 dst_sel:DWORD dst_unused:UNUSED_PAD src0_sel:WORD_1 src1_sel:DWORD
	v_fma_f16 v85, v10, v54, -v55
	s_waitcnt lgkmcnt(0)
	v_lshrrev_b32_e32 v54, 16, v58
	v_mul_f16_sdwa v55, v9, v58 dst_sel:DWORD dst_unused:UNUSED_PAD src0_sel:WORD_1 src1_sel:DWORD
	v_fma_f16 v86, v9, v54, -v55
	v_mul_f16_sdwa v54, v9, v54 dst_sel:DWORD dst_unused:UNUSED_PAD src0_sel:WORD_1 src1_sel:DWORD
	v_fma_f16 v58, v9, v58, v54
	ds_read2st64_b32 v[54:55], v33 offset0:28 offset1:30
	v_lshrrev_b32_e32 v56, 16, v59
	v_mul_f16_sdwa v87, v9, v56 dst_sel:DWORD dst_unused:UNUSED_PAD src0_sel:WORD_1 src1_sel:DWORD
	v_fma_f16 v87, v9, v59, v87
	v_mul_f16_sdwa v59, v9, v59 dst_sel:DWORD dst_unused:UNUSED_PAD src0_sel:WORD_1 src1_sel:DWORD
	v_fma_f16 v59, v9, v56, -v59
	s_waitcnt lgkmcnt(0)
	v_lshrrev_b32_e32 v56, 16, v55
	v_mul_f16_sdwa v88, v11, v55 dst_sel:DWORD dst_unused:UNUSED_PAD src0_sel:WORD_1 src1_sel:DWORD
	v_fma_f16 v88, v11, v56, -v88
	v_mul_f16_sdwa v56, v11, v56 dst_sel:DWORD dst_unused:UNUSED_PAD src0_sel:WORD_1 src1_sel:DWORD
	v_fma_f16 v89, v11, v55, v56
	ds_read2st64_b32 v[55:56], v33 offset0:36 offset1:38
	v_lshrrev_b32_e32 v90, 16, v54
	v_mul_f16_sdwa v91, v10, v90 dst_sel:DWORD dst_unused:UNUSED_PAD src0_sel:WORD_1 src1_sel:DWORD
	v_fma_f16 v91, v10, v54, v91
	v_mul_f16_sdwa v54, v10, v54 dst_sel:DWORD dst_unused:UNUSED_PAD src0_sel:WORD_1 src1_sel:DWORD
	v_fma_f16 v90, v10, v90, -v54
	s_waitcnt lgkmcnt(0)
	v_lshrrev_b32_e32 v10, 16, v55
	v_mul_f16_sdwa v54, v11, v55 dst_sel:DWORD dst_unused:UNUSED_PAD src0_sel:WORD_1 src1_sel:DWORD
	v_fma_f16 v92, v11, v10, -v54
	v_mul_f16_sdwa v10, v11, v10 dst_sel:DWORD dst_unused:UNUSED_PAD src0_sel:WORD_1 src1_sel:DWORD
	v_fma_f16 v93, v11, v55, v10
	v_lshrrev_b32_e32 v10, 16, v56
	ds_read2st64_b32 v[54:55], v33 offset0:8 offset1:10
	v_mul_f16_sdwa v94, v11, v10 dst_sel:DWORD dst_unused:UNUSED_PAD src0_sel:WORD_1 src1_sel:DWORD
	v_fma_f16 v94, v11, v56, v94
	v_mul_f16_sdwa v56, v11, v56 dst_sel:DWORD dst_unused:UNUSED_PAD src0_sel:WORD_1 src1_sel:DWORD
	v_fma_f16 v56, v11, v10, -v56
	ds_read2st64_b32 v[10:11], v33 offset1:2
	s_waitcnt lgkmcnt(1)
	v_lshrrev_b32_e32 v95, 16, v55
	v_mul_f16_sdwa v96, v9, v55 dst_sel:DWORD dst_unused:UNUSED_PAD src0_sel:WORD_1 src1_sel:DWORD
	v_fma_f16 v96, v9, v95, -v96
	v_mul_f16_sdwa v95, v9, v95 dst_sel:DWORD dst_unused:UNUSED_PAD src0_sel:WORD_1 src1_sel:DWORD
	v_fma_f16 v9, v9, v55, v95
	s_waitcnt lgkmcnt(0)
	v_sub_f16_e32 v55, v10, v75
	v_lshrrev_b32_e32 v75, 16, v10
	v_sub_f16_e32 v78, v75, v78
	v_sub_f16_e32 v89, v9, v89
	;; [unrolled: 1-line block ×3, first 2 shown]
	v_fma_f16 v75, v75, 2.0, -v78
	v_fma_f16 v9, v9, 2.0, -v89
	v_fma_f16 v95, v96, 2.0, -v88
	v_fma_f16 v10, v10, 2.0, -v55
	v_sub_f16_e32 v96, v10, v9
	v_sub_f16_e32 v95, v75, v95
	v_fma_f16 v9, v10, 2.0, -v96
	v_fma_f16 v10, v75, 2.0, -v95
	v_add_f16_e32 v88, v55, v88
	v_sub_f16_e32 v89, v78, v89
	v_pack_b32_f16 v75, v9, v10
	v_fma_f16 v9, v55, 2.0, -v88
	v_fma_f16 v10, v78, 2.0, -v89
	v_pack_b32_f16 v55, v9, v10
	ds_read2st64_b32 v[9:10], v33 offset0:4 offset1:6
	s_waitcnt lgkmcnt(0)
	s_barrier
	ds_write2_b32 v57, v75, v55 offset1:4
	v_pack_b32_f16 v55, v96, v95
	v_pack_b32_f16 v75, v88, v89
	ds_write2_b32 v57, v55, v75 offset0:8 offset1:12
	v_lshrrev_b32_e32 v57, 16, v11
	v_sub_f16_e32 v55, v11, v79
	v_sub_f16_e32 v71, v57, v71
	;; [unrolled: 1-line block ×4, first 2 shown]
	v_fma_f16 v11, v11, 2.0, -v55
	v_fma_f16 v57, v57, 2.0, -v71
	;; [unrolled: 1-line block ×4, first 2 shown]
	v_sub_f16_e32 v63, v11, v63
	v_sub_f16_e32 v78, v57, v78
	v_fma_f16 v11, v11, 2.0, -v63
	v_fma_f16 v57, v57, 2.0, -v78
	v_pack_b32_f16 v11, v11, v57
	v_add_f16_e32 v57, v55, v75
	v_sub_f16_e32 v61, v71, v61
	v_fma_f16 v55, v55, 2.0, -v57
	v_fma_f16 v71, v71, 2.0, -v61
	v_pack_b32_f16 v55, v55, v71
	ds_write2_b32 v66, v11, v55 offset1:4
	v_pack_b32_f16 v11, v63, v78
	v_pack_b32_f16 v55, v57, v61
	ds_write2_b32 v66, v11, v55 offset0:8 offset1:12
	v_lshrrev_b32_e32 v55, 16, v9
	v_sub_f16_e32 v11, v9, v83
	v_sub_f16_e32 v57, v55, v74
	;; [unrolled: 1-line block ×4, first 2 shown]
	v_fma_f16 v55, v55, 2.0, -v57
	v_fma_f16 v63, v81, 2.0, -v61
	v_fma_f16 v66, v72, 2.0, -v62
	v_fma_f16 v9, v9, 2.0, -v11
	v_sub_f16_e32 v63, v9, v63
	v_sub_f16_e32 v66, v55, v66
	v_fma_f16 v9, v9, 2.0, -v63
	v_fma_f16 v55, v55, 2.0, -v66
	v_pack_b32_f16 v9, v9, v55
	v_add_f16_e32 v55, v11, v62
	v_sub_f16_e32 v61, v57, v61
	v_fma_f16 v11, v11, 2.0, -v55
	v_fma_f16 v57, v57, 2.0, -v61
	v_pack_b32_f16 v11, v11, v57
	ds_write2_b32 v70, v9, v11 offset1:4
	v_lshrrev_b32_e32 v11, 16, v10
	v_sub_f16_e32 v9, v10, v84
	v_pack_b32_f16 v63, v63, v66
	v_sub_f16_e32 v66, v11, v85
	v_sub_f16_e32 v71, v58, v93
	;; [unrolled: 1-line block ×3, first 2 shown]
	v_fma_f16 v10, v10, 2.0, -v9
	v_lshrrev_b32_e32 v62, 16, v54
	v_fma_f16 v11, v11, 2.0, -v66
	v_fma_f16 v58, v58, 2.0, -v71
	;; [unrolled: 1-line block ×3, first 2 shown]
	v_sub_f16_e32 v57, v54, v91
	v_sub_f16_e32 v58, v10, v58
	;; [unrolled: 1-line block ×3, first 2 shown]
	v_add_f16_e32 v72, v9, v72
	v_sub_f16_e32 v71, v66, v71
	v_sub_f16_e32 v74, v62, v90
	;; [unrolled: 1-line block ×4, first 2 shown]
	v_fma_f16 v54, v54, 2.0, -v57
	v_fma_f16 v10, v10, 2.0, -v58
	;; [unrolled: 1-line block ×8, first 2 shown]
	v_sub_f16_e32 v78, v54, v78
	v_sub_f16_e32 v59, v62, v59
	v_add_f16_e32 v56, v57, v56
	v_sub_f16_e32 v75, v74, v75
	v_pack_b32_f16 v10, v10, v11
	v_pack_b32_f16 v9, v9, v66
	v_fma_f16 v54, v54, 2.0, -v78
	v_fma_f16 v62, v62, 2.0, -v59
	;; [unrolled: 1-line block ×4, first 2 shown]
	ds_write2_b32 v68, v10, v9 offset1:4
	v_pack_b32_f16 v9, v58, v73
	v_pack_b32_f16 v10, v72, v71
	ds_write2_b32 v68, v9, v10 offset0:8 offset1:12
	v_pack_b32_f16 v9, v54, v62
	v_pack_b32_f16 v10, v57, v74
	;; [unrolled: 1-line block ×3, first 2 shown]
	ds_write2_b32 v69, v9, v10 offset1:4
	v_pack_b32_f16 v9, v78, v59
	v_pack_b32_f16 v10, v56, v75
	ds_write2_b32 v70, v63, v55 offset0:8 offset1:12
	ds_write2_b32 v69, v9, v10 offset0:8 offset1:12
	s_waitcnt lgkmcnt(0)
	s_barrier
	ds_read2st64_b32 v[9:10], v33 offset0:20 offset1:22
	ds_read2st64_b32 v[54:55], v33 offset0:12 offset1:14
	;; [unrolled: 1-line block ×5, first 2 shown]
	s_waitcnt lgkmcnt(4)
	v_lshrrev_b32_e32 v11, 16, v9
	v_mul_f16_sdwa v75, v19, v11 dst_sel:DWORD dst_unused:UNUSED_PAD src0_sel:WORD_1 src1_sel:DWORD
	v_lshrrev_b32_e32 v66, 16, v10
	v_fma_f16 v75, v19, v9, v75
	v_mul_f16_sdwa v9, v19, v9 dst_sel:DWORD dst_unused:UNUSED_PAD src0_sel:WORD_1 src1_sel:DWORD
	v_fma_f16 v78, v19, v11, -v9
	v_mul_f16_sdwa v9, v19, v66 dst_sel:DWORD dst_unused:UNUSED_PAD src0_sel:WORD_1 src1_sel:DWORD
	s_waitcnt lgkmcnt(3)
	v_lshrrev_b32_e32 v63, 16, v54
	v_fma_f16 v79, v19, v10, v9
	v_mul_f16_sdwa v9, v19, v10 dst_sel:DWORD dst_unused:UNUSED_PAD src0_sel:WORD_1 src1_sel:DWORD
	v_mul_f16_sdwa v10, v18, v54 dst_sel:DWORD dst_unused:UNUSED_PAD src0_sel:WORD_1 src1_sel:DWORD
	v_lshrrev_b32_e32 v69, 16, v55
	v_fma_f16 v80, v18, v63, -v10
	v_mul_f16_sdwa v10, v18, v63 dst_sel:DWORD dst_unused:UNUSED_PAD src0_sel:WORD_1 src1_sel:DWORD
	s_waitcnt lgkmcnt(2)
	v_lshrrev_b32_e32 v68, 16, v56
	v_fma_f16 v54, v18, v54, v10
	v_fma_f16 v63, v19, v66, -v9
	v_mul_f16_sdwa v9, v18, v69 dst_sel:DWORD dst_unused:UNUSED_PAD src0_sel:WORD_1 src1_sel:DWORD
	v_mul_f16_sdwa v10, v20, v56 dst_sel:DWORD dst_unused:UNUSED_PAD src0_sel:WORD_1 src1_sel:DWORD
	v_lshrrev_b32_e32 v71, 16, v57
	v_fma_f16 v66, v18, v55, v9
	v_mul_f16_sdwa v9, v18, v55 dst_sel:DWORD dst_unused:UNUSED_PAD src0_sel:WORD_1 src1_sel:DWORD
	v_fma_f16 v55, v20, v68, -v10
	v_mul_f16_sdwa v10, v20, v68 dst_sel:DWORD dst_unused:UNUSED_PAD src0_sel:WORD_1 src1_sel:DWORD
	s_waitcnt lgkmcnt(1)
	v_lshrrev_b32_e32 v70, 16, v58
	v_fma_f16 v56, v20, v56, v10
	v_fma_f16 v68, v18, v69, -v9
	v_mul_f16_sdwa v9, v20, v71 dst_sel:DWORD dst_unused:UNUSED_PAD src0_sel:WORD_1 src1_sel:DWORD
	v_mul_f16_sdwa v10, v19, v58 dst_sel:DWORD dst_unused:UNUSED_PAD src0_sel:WORD_1 src1_sel:DWORD
	v_lshrrev_b32_e32 v73, 16, v59
	v_fma_f16 v69, v20, v57, v9
	v_mul_f16_sdwa v9, v20, v57 dst_sel:DWORD dst_unused:UNUSED_PAD src0_sel:WORD_1 src1_sel:DWORD
	v_fma_f16 v57, v19, v70, -v10
	v_mul_f16_sdwa v10, v19, v70 dst_sel:DWORD dst_unused:UNUSED_PAD src0_sel:WORD_1 src1_sel:DWORD
	s_waitcnt lgkmcnt(0)
	v_lshrrev_b32_e32 v72, 16, v61
	v_fma_f16 v58, v19, v58, v10
	v_fma_f16 v70, v20, v71, -v9
	v_mul_f16_sdwa v9, v19, v73 dst_sel:DWORD dst_unused:UNUSED_PAD src0_sel:WORD_1 src1_sel:DWORD
	v_mul_f16_sdwa v10, v18, v61 dst_sel:DWORD dst_unused:UNUSED_PAD src0_sel:WORD_1 src1_sel:DWORD
	v_fma_f16 v71, v19, v59, v9
	v_mul_f16_sdwa v9, v19, v59 dst_sel:DWORD dst_unused:UNUSED_PAD src0_sel:WORD_1 src1_sel:DWORD
	v_fma_f16 v59, v18, v72, -v10
	v_mul_f16_sdwa v10, v18, v72 dst_sel:DWORD dst_unused:UNUSED_PAD src0_sel:WORD_1 src1_sel:DWORD
	v_fma_f16 v61, v18, v61, v10
	v_fma_f16 v72, v19, v73, -v9
	ds_read2st64_b32 v[9:10], v33 offset0:28 offset1:30
	v_lshrrev_b32_e32 v74, 16, v62
	v_mul_f16_sdwa v11, v18, v74 dst_sel:DWORD dst_unused:UNUSED_PAD src0_sel:WORD_1 src1_sel:DWORD
	v_fma_f16 v73, v18, v62, v11
	v_mul_f16_sdwa v11, v18, v62 dst_sel:DWORD dst_unused:UNUSED_PAD src0_sel:WORD_1 src1_sel:DWORD
	v_fma_f16 v62, v18, v74, -v11
	s_waitcnt lgkmcnt(0)
	v_lshrrev_b32_e32 v11, 16, v10
	v_mul_f16_sdwa v74, v20, v10 dst_sel:DWORD dst_unused:UNUSED_PAD src0_sel:WORD_1 src1_sel:DWORD
	v_fma_f16 v74, v20, v11, -v74
	v_mul_f16_sdwa v11, v20, v11 dst_sel:DWORD dst_unused:UNUSED_PAD src0_sel:WORD_1 src1_sel:DWORD
	v_fma_f16 v81, v20, v10, v11
	ds_read2st64_b32 v[10:11], v33 offset0:36 offset1:38
	v_lshrrev_b32_e32 v82, 16, v9
	v_mul_f16_sdwa v83, v19, v82 dst_sel:DWORD dst_unused:UNUSED_PAD src0_sel:WORD_1 src1_sel:DWORD
	v_fma_f16 v83, v19, v9, v83
	v_mul_f16_sdwa v9, v19, v9 dst_sel:DWORD dst_unused:UNUSED_PAD src0_sel:WORD_1 src1_sel:DWORD
	v_fma_f16 v82, v19, v82, -v9
	s_waitcnt lgkmcnt(0)
	v_lshrrev_b32_e32 v9, 16, v10
	v_mul_f16_sdwa v19, v20, v10 dst_sel:DWORD dst_unused:UNUSED_PAD src0_sel:WORD_1 src1_sel:DWORD
	v_fma_f16 v84, v20, v9, -v19
	v_mul_f16_sdwa v9, v20, v9 dst_sel:DWORD dst_unused:UNUSED_PAD src0_sel:WORD_1 src1_sel:DWORD
	v_lshrrev_b32_e32 v19, 16, v11
	v_fma_f16 v85, v20, v10, v9
	ds_read2st64_b32 v[9:10], v33 offset0:8 offset1:10
	v_mul_f16_sdwa v86, v20, v19 dst_sel:DWORD dst_unused:UNUSED_PAD src0_sel:WORD_1 src1_sel:DWORD
	v_fma_f16 v86, v20, v11, v86
	v_mul_f16_sdwa v11, v20, v11 dst_sel:DWORD dst_unused:UNUSED_PAD src0_sel:WORD_1 src1_sel:DWORD
	v_fma_f16 v87, v20, v19, -v11
	ds_read2st64_b32 v[19:20], v33 offset1:2
	s_waitcnt lgkmcnt(1)
	v_lshrrev_b32_e32 v11, 16, v10
	v_mul_f16_sdwa v88, v18, v10 dst_sel:DWORD dst_unused:UNUSED_PAD src0_sel:WORD_1 src1_sel:DWORD
	v_fma_f16 v88, v18, v11, -v88
	v_mul_f16_sdwa v11, v18, v11 dst_sel:DWORD dst_unused:UNUSED_PAD src0_sel:WORD_1 src1_sel:DWORD
	v_fma_f16 v10, v18, v10, v11
	s_waitcnt lgkmcnt(0)
	v_lshrrev_b32_e32 v18, 16, v19
	v_sub_f16_e32 v11, v19, v75
	v_sub_f16_e32 v75, v18, v78
	;; [unrolled: 1-line block ×4, first 2 shown]
	v_fma_f16 v18, v18, 2.0, -v75
	v_fma_f16 v10, v10, 2.0, -v78
	;; [unrolled: 1-line block ×4, first 2 shown]
	v_sub_f16_e32 v88, v19, v10
	v_sub_f16_e32 v81, v18, v81
	v_fma_f16 v10, v19, 2.0, -v88
	v_fma_f16 v18, v18, 2.0, -v81
	v_add_f16_e32 v19, v11, v74
	v_sub_f16_e32 v74, v75, v78
	v_pack_b32_f16 v18, v10, v18
	v_fma_f16 v10, v11, 2.0, -v19
	v_fma_f16 v11, v75, 2.0, -v74
	v_pack_b32_f16 v75, v10, v11
	ds_read2st64_b32 v[10:11], v33 offset0:4 offset1:6
	s_waitcnt lgkmcnt(0)
	s_barrier
	ds_write2_b32 v65, v18, v75 offset1:16
	v_pack_b32_f16 v18, v88, v81
	v_pack_b32_f16 v19, v19, v74
	ds_write2_b32 v65, v18, v19 offset0:32 offset1:48
	v_lshrrev_b32_e32 v19, 16, v20
	v_sub_f16_e32 v18, v20, v79
	v_sub_f16_e32 v63, v19, v63
	;; [unrolled: 1-line block ×4, first 2 shown]
	v_fma_f16 v20, v20, 2.0, -v18
	v_fma_f16 v19, v19, 2.0, -v63
	;; [unrolled: 1-line block ×4, first 2 shown]
	v_sub_f16_e32 v54, v20, v54
	v_sub_f16_e32 v65, v19, v65
	v_fma_f16 v20, v20, 2.0, -v54
	v_fma_f16 v19, v19, 2.0, -v65
	v_pack_b32_f16 v19, v20, v19
	v_add_f16_e32 v20, v18, v55
	v_sub_f16_e32 v55, v63, v56
	v_fma_f16 v18, v18, 2.0, -v20
	v_fma_f16 v56, v63, 2.0, -v55
	v_pack_b32_f16 v18, v18, v56
	v_lshrrev_b32_e32 v56, 16, v10
	ds_write2_b32 v60, v19, v18 offset1:16
	v_sub_f16_e32 v18, v10, v58
	v_pack_b32_f16 v54, v54, v65
	v_pack_b32_f16 v20, v20, v55
	v_sub_f16_e32 v55, v56, v57
	v_sub_f16_e32 v57, v66, v69
	;; [unrolled: 1-line block ×3, first 2 shown]
	v_lshrrev_b32_e32 v58, 16, v11
	v_fma_f16 v10, v10, 2.0, -v18
	v_fma_f16 v56, v56, 2.0, -v55
	;; [unrolled: 1-line block ×4, first 2 shown]
	v_sub_f16_e32 v19, v11, v71
	v_sub_f16_e32 v66, v10, v66
	;; [unrolled: 1-line block ×3, first 2 shown]
	v_add_f16_e32 v65, v18, v65
	v_sub_f16_e32 v57, v55, v57
	v_sub_f16_e32 v69, v58, v72
	;; [unrolled: 1-line block ×4, first 2 shown]
	v_fma_f16 v11, v11, 2.0, -v19
	v_lshrrev_b32_e32 v71, 16, v9
	v_fma_f16 v10, v10, 2.0, -v66
	v_fma_f16 v56, v56, 2.0, -v68
	;; [unrolled: 1-line block ×7, first 2 shown]
	v_sub_f16_e32 v63, v9, v83
	v_sub_f16_e32 v61, v11, v61
	;; [unrolled: 1-line block ×3, first 2 shown]
	v_add_f16_e32 v72, v19, v72
	v_sub_f16_e32 v70, v69, v70
	v_sub_f16_e32 v74, v71, v82
	;; [unrolled: 1-line block ×4, first 2 shown]
	v_pack_b32_f16 v10, v10, v56
	v_pack_b32_f16 v18, v18, v55
	v_fma_f16 v9, v9, 2.0, -v63
	v_fma_f16 v11, v11, 2.0, -v61
	;; [unrolled: 1-line block ×8, first 2 shown]
	ds_write2_b32 v67, v10, v18 offset1:16
	v_pack_b32_f16 v10, v66, v68
	v_pack_b32_f16 v18, v65, v57
	v_sub_f16_e32 v73, v9, v73
	v_sub_f16_e32 v62, v71, v62
	v_add_f16_e32 v78, v63, v78
	v_sub_f16_e32 v75, v74, v75
	ds_write2_b32 v67, v10, v18 offset0:32 offset1:48
	v_pack_b32_f16 v10, v11, v58
	v_pack_b32_f16 v11, v19, v69
	v_fma_f16 v9, v9, 2.0, -v73
	v_fma_f16 v71, v71, 2.0, -v62
	;; [unrolled: 1-line block ×4, first 2 shown]
	ds_write2_b32 v76, v10, v11 offset1:16
	v_pack_b32_f16 v10, v61, v59
	v_pack_b32_f16 v11, v72, v70
	ds_write2_b32 v76, v10, v11 offset0:32 offset1:48
	v_pack_b32_f16 v9, v9, v71
	v_pack_b32_f16 v10, v63, v74
	ds_write2_b32 v77, v9, v10 offset1:16
	v_pack_b32_f16 v9, v73, v62
	v_pack_b32_f16 v10, v78, v75
	ds_write2_b32 v60, v54, v20 offset0:32 offset1:48
	ds_write2_b32 v77, v9, v10 offset0:32 offset1:48
	s_waitcnt lgkmcnt(0)
	s_barrier
	ds_read2st64_b32 v[9:10], v33 offset0:4 offset1:6
	ds_read2st64_b32 v[54:55], v33 offset0:8 offset1:10
	;; [unrolled: 1-line block ×8, first 2 shown]
	s_waitcnt lgkmcnt(4)
	v_lshrrev_b32_e32 v63, 16, v59
	v_lshrrev_b32_e32 v11, 16, v9
	v_mul_f16_sdwa v20, v5, v11 dst_sel:DWORD dst_unused:UNUSED_PAD src0_sel:WORD_1 src1_sel:DWORD
	v_lshrrev_b32_e32 v19, 16, v10
	v_fma_f16 v78, v5, v9, v20
	v_mul_f16_sdwa v9, v5, v9 dst_sel:DWORD dst_unused:UNUSED_PAD src0_sel:WORD_1 src1_sel:DWORD
	v_fma_f16 v9, v5, v11, -v9
	v_mul_f16_sdwa v11, v5, v19 dst_sel:DWORD dst_unused:UNUSED_PAD src0_sel:WORD_1 src1_sel:DWORD
	v_lshrrev_b32_e32 v75, 16, v55
	v_fma_f16 v20, v5, v10, v11
	v_mul_f16_sdwa v10, v5, v10 dst_sel:DWORD dst_unused:UNUSED_PAD src0_sel:WORD_1 src1_sel:DWORD
	v_lshrrev_b32_e32 v18, 16, v54
	v_mul_f16_sdwa v11, v6, v54 dst_sel:DWORD dst_unused:UNUSED_PAD src0_sel:WORD_1 src1_sel:DWORD
	v_fma_f16 v19, v5, v19, -v10
	v_mul_f16_sdwa v5, v6, v75 dst_sel:DWORD dst_unused:UNUSED_PAD src0_sel:WORD_1 src1_sel:DWORD
	v_lshrrev_b32_e32 v58, 16, v56
	v_lshrrev_b32_e32 v76, 16, v57
	v_fma_f16 v11, v6, v18, -v11
	v_mul_f16_sdwa v18, v6, v18 dst_sel:DWORD dst_unused:UNUSED_PAD src0_sel:WORD_1 src1_sel:DWORD
	v_fma_f16 v79, v6, v55, v5
	v_mul_f16_sdwa v5, v6, v55 dst_sel:DWORD dst_unused:UNUSED_PAD src0_sel:WORD_1 src1_sel:DWORD
	v_mul_f16_sdwa v10, v7, v56 dst_sel:DWORD dst_unused:UNUSED_PAD src0_sel:WORD_1 src1_sel:DWORD
	v_fma_f16 v18, v6, v54, v18
	v_fma_f16 v10, v7, v58, -v10
	v_mul_f16_sdwa v54, v7, v58 dst_sel:DWORD dst_unused:UNUSED_PAD src0_sel:WORD_1 src1_sel:DWORD
	v_fma_f16 v58, v6, v75, -v5
	v_mul_f16_sdwa v5, v7, v76 dst_sel:DWORD dst_unused:UNUSED_PAD src0_sel:WORD_1 src1_sel:DWORD
	v_lshrrev_b32_e32 v77, 16, v60
	v_fma_f16 v80, v7, v56, v54
	v_fma_f16 v55, v7, v57, v5
	v_mul_f16_sdwa v5, v7, v57 dst_sel:DWORD dst_unused:UNUSED_PAD src0_sel:WORD_1 src1_sel:DWORD
	v_mul_f16_sdwa v6, v8, v59 dst_sel:DWORD dst_unused:UNUSED_PAD src0_sel:WORD_1 src1_sel:DWORD
	;; [unrolled: 1-line block ×3, first 2 shown]
	s_waitcnt lgkmcnt(3)
	v_lshrrev_b32_e32 v71, 16, v61
	v_fma_f16 v6, v8, v63, -v6
	v_fma_f16 v63, v8, v59, v54
	v_fma_f16 v54, v7, v76, -v5
	v_mul_f16_sdwa v5, v8, v77 dst_sel:DWORD dst_unused:UNUSED_PAD src0_sel:WORD_1 src1_sel:DWORD
	v_fma_f16 v75, v8, v60, v5
	v_mul_f16_sdwa v5, v8, v60 dst_sel:DWORD dst_unused:UNUSED_PAD src0_sel:WORD_1 src1_sel:DWORD
	v_mul_f16_sdwa v56, v1, v71 dst_sel:DWORD dst_unused:UNUSED_PAD src0_sel:WORD_1 src1_sel:DWORD
	v_lshrrev_b32_e32 v7, 16, v62
	v_fma_f16 v76, v8, v77, -v5
	v_fma_f16 v77, v1, v61, v56
	v_mul_f16_sdwa v56, v1, v61 dst_sel:DWORD dst_unused:UNUSED_PAD src0_sel:WORD_1 src1_sel:DWORD
	v_fma_f16 v61, v1, v71, -v56
	v_mul_f16_sdwa v56, v1, v7 dst_sel:DWORD dst_unused:UNUSED_PAD src0_sel:WORD_1 src1_sel:DWORD
	s_waitcnt lgkmcnt(2)
	v_lshrrev_b32_e32 v72, 16, v65
	v_lshrrev_b32_e32 v5, 16, v66
	v_fma_f16 v57, v1, v62, v56
	v_mul_f16_sdwa v56, v1, v62 dst_sel:DWORD dst_unused:UNUSED_PAD src0_sel:WORD_1 src1_sel:DWORD
	v_mul_f16_sdwa v60, v2, v65 dst_sel:DWORD dst_unused:UNUSED_PAD src0_sel:WORD_1 src1_sel:DWORD
	s_waitcnt lgkmcnt(1)
	v_lshrrev_b32_e32 v73, 16, v67
	v_fma_f16 v62, v2, v72, -v60
	v_mul_f16_sdwa v60, v2, v72 dst_sel:DWORD dst_unused:UNUSED_PAD src0_sel:WORD_1 src1_sel:DWORD
	v_fma_f16 v56, v1, v7, -v56
	v_mul_f16_sdwa v1, v2, v5 dst_sel:DWORD dst_unused:UNUSED_PAD src0_sel:WORD_1 src1_sel:DWORD
	v_lshrrev_b32_e32 v8, 16, v68
	v_fma_f16 v65, v2, v65, v60
	v_fma_f16 v71, v2, v66, v1
	v_mul_f16_sdwa v1, v2, v66 dst_sel:DWORD dst_unused:UNUSED_PAD src0_sel:WORD_1 src1_sel:DWORD
	v_mul_f16_sdwa v60, v3, v73 dst_sel:DWORD dst_unused:UNUSED_PAD src0_sel:WORD_1 src1_sel:DWORD
	s_waitcnt lgkmcnt(0)
	v_lshrrev_b32_e32 v74, 16, v69
	v_mul_f16_sdwa v7, v3, v67 dst_sel:DWORD dst_unused:UNUSED_PAD src0_sel:WORD_1 src1_sel:DWORD
	v_fma_f16 v66, v3, v67, v60
	v_fma_f16 v67, v2, v5, -v1
	v_mul_f16_sdwa v1, v3, v8 dst_sel:DWORD dst_unused:UNUSED_PAD src0_sel:WORD_1 src1_sel:DWORD
	v_mul_f16_sdwa v2, v4, v69 dst_sel:DWORD dst_unused:UNUSED_PAD src0_sel:WORD_1 src1_sel:DWORD
	v_fma_f16 v72, v3, v68, v1
	v_mul_f16_sdwa v1, v3, v68 dst_sel:DWORD dst_unused:UNUSED_PAD src0_sel:WORD_1 src1_sel:DWORD
	v_fma_f16 v5, v4, v74, -v2
	v_mul_f16_sdwa v2, v4, v74 dst_sel:DWORD dst_unused:UNUSED_PAD src0_sel:WORD_1 src1_sel:DWORD
	v_fma_f16 v68, v4, v69, v2
	v_fma_f16 v69, v3, v8, -v1
	ds_read2st64_b32 v[1:2], v33 offset0:36 offset1:38
	v_lshrrev_b32_e32 v59, 16, v70
	v_fma_f16 v7, v3, v73, -v7
	v_mul_f16_sdwa v3, v4, v59 dst_sel:DWORD dst_unused:UNUSED_PAD src0_sel:WORD_1 src1_sel:DWORD
	v_fma_f16 v73, v4, v70, v3
	v_mul_f16_sdwa v3, v4, v70 dst_sel:DWORD dst_unused:UNUSED_PAD src0_sel:WORD_1 src1_sel:DWORD
	v_fma_f16 v70, v4, v59, -v3
	s_waitcnt lgkmcnt(0)
	v_lshrrev_b32_e32 v3, 16, v1
	v_mul_f16_sdwa v8, v64, v3 dst_sel:DWORD dst_unused:UNUSED_PAD src0_sel:WORD_1 src1_sel:DWORD
	v_lshrrev_b32_e32 v4, 16, v2
	v_fma_f16 v8, v64, v1, v8
	v_mul_f16_sdwa v1, v64, v1 dst_sel:DWORD dst_unused:UNUSED_PAD src0_sel:WORD_1 src1_sel:DWORD
	ds_read2st64_b32 v[59:60], v33 offset1:2
	v_fma_f16 v1, v64, v3, -v1
	v_mul_f16_sdwa v3, v64, v4 dst_sel:DWORD dst_unused:UNUSED_PAD src0_sel:WORD_1 src1_sel:DWORD
	v_fma_f16 v74, v64, v2, v3
	v_mul_f16_sdwa v2, v64, v2 dst_sel:DWORD dst_unused:UNUSED_PAD src0_sel:WORD_1 src1_sel:DWORD
	v_fma_f16 v64, v64, v4, -v2
	v_sub_f16_e32 v2, v18, v63
	v_sub_f16_e32 v3, v68, v65
	v_add_f16_e32 v2, v2, v3
	v_add_f16_e32 v3, v63, v65
	s_waitcnt lgkmcnt(0)
	v_fma_f16 v3, v3, -0.5, v59
	v_sub_f16_e32 v4, v11, v5
	v_fma_f16 v81, v4, s14, v3
	v_sub_f16_e32 v82, v6, v62
	v_fma_f16 v3, v4, s1, v3
	v_fma_f16 v81, v82, s13, v81
	;; [unrolled: 1-line block ×5, first 2 shown]
	v_sub_f16_e32 v2, v63, v18
	v_sub_f16_e32 v3, v65, v68
	v_add_f16_e32 v2, v2, v3
	v_add_f16_e32 v3, v18, v68
	v_fma_f16 v3, v3, -0.5, v59
	v_fma_f16 v84, v82, s1, v3
	v_fma_f16 v3, v82, s14, v3
	;; [unrolled: 1-line block ×6, first 2 shown]
	v_add_f16_e32 v2, v59, v18
	v_add_f16_e32 v2, v2, v63
	v_add_f16_e32 v2, v2, v65
	v_sub_f16_e32 v3, v18, v68
	v_sub_f16_e32 v18, v63, v65
	;; [unrolled: 1-line block ×4, first 2 shown]
	v_add_f16_e32 v63, v63, v65
	v_lshrrev_b32_e32 v59, 16, v59
	v_add_f16_e32 v65, v6, v62
	v_fma_f16 v65, v65, -0.5, v59
	v_add_f16_e32 v2, v2, v68
	v_fma_f16 v68, v3, s1, v65
	v_fma_f16 v65, v3, s14, v65
	;; [unrolled: 1-line block ×6, first 2 shown]
	v_add_f16_e32 v65, v11, v5
	v_fma_f16 v65, v65, -0.5, v59
	v_add_f16_e32 v59, v59, v11
	v_add_f16_e32 v59, v59, v6
	v_sub_f16_e32 v6, v6, v11
	v_add_f16_e32 v11, v59, v62
	v_add_f16_e32 v11, v11, v5
	v_sub_f16_e32 v5, v62, v5
	v_add_f16_e32 v5, v6, v5
	v_fma_f16 v6, v18, s14, v65
	v_fma_f16 v18, v18, s1, v65
	v_fma_f16 v6, v3, s0, v6
	v_fma_f16 v3, v3, s13, v18
	v_fma_f16 v18, v5, s12, v6
	v_fma_f16 v59, v5, s12, v3
	v_sub_f16_e32 v3, v80, v77
	v_sub_f16_e32 v5, v8, v66
	v_add_f16_e32 v3, v3, v5
	v_add_f16_e32 v5, v77, v66
	v_fma_f16 v5, v5, -0.5, v78
	v_sub_f16_e32 v6, v10, v1
	v_fma_f16 v62, v6, s14, v5
	v_sub_f16_e32 v65, v61, v7
	v_fma_f16 v5, v6, s1, v5
	v_fma_f16 v62, v65, s13, v62
	;; [unrolled: 1-line block ×5, first 2 shown]
	v_sub_f16_e32 v5, v77, v80
	v_sub_f16_e32 v84, v66, v8
	v_add_f16_e32 v5, v5, v84
	v_add_f16_e32 v84, v80, v8
	v_fma_f16 v84, v84, -0.5, v78
	v_fma_f16 v85, v65, s1, v84
	v_fma_f16 v65, v65, s14, v84
	;; [unrolled: 1-line block ×6, first 2 shown]
	v_add_f16_e32 v6, v78, v80
	v_add_f16_e32 v6, v6, v77
	v_add_f16_e32 v6, v6, v66
	v_sub_f16_e32 v66, v77, v66
	v_sub_f16_e32 v77, v10, v61
	;; [unrolled: 1-line block ×3, first 2 shown]
	v_add_f16_e32 v77, v77, v78
	v_add_f16_e32 v78, v61, v7
	;; [unrolled: 1-line block ×3, first 2 shown]
	v_sub_f16_e32 v8, v80, v8
	v_fma_f16 v78, v78, -0.5, v9
	v_fma_f16 v80, v8, s1, v78
	v_fma_f16 v78, v8, s14, v78
	v_fma_f16 v80, v66, s0, v80
	v_fma_f16 v78, v66, s13, v78
	v_fma_f16 v80, v77, s12, v80
	v_fma_f16 v77, v77, s12, v78
	v_add_f16_e32 v78, v10, v1
	v_fma_f16 v78, v78, -0.5, v9
	v_add_f16_e32 v9, v9, v10
	v_add_f16_e32 v9, v9, v61
	v_add_f16_e32 v9, v9, v7
	v_sub_f16_e32 v10, v61, v10
	v_add_f16_e32 v9, v9, v1
	v_sub_f16_e32 v1, v7, v1
	v_fma_f16 v7, v66, s14, v78
	v_add_f16_e32 v1, v10, v1
	v_fma_f16 v10, v66, s1, v78
	v_fma_f16 v7, v8, s0, v7
	;; [unrolled: 1-line block ×5, first 2 shown]
	v_mul_f16_e32 v8, 0xb8b4, v80
	v_mul_f16_e32 v10, 0x3a79, v80
	;; [unrolled: 1-line block ×4, first 2 shown]
	v_fma_f16 v8, v62, s15, v8
	v_fma_f16 v10, v62, s0, v10
	;; [unrolled: 1-line block ×3, first 2 shown]
	v_mul_f16_e32 v7, 0xbb9c, v1
	v_mul_f16_e32 v1, 0xb4f2, v1
	v_fma_f16 v61, v65, s12, v61
	v_fma_f16 v65, v5, s1, v1
	v_mul_f16_e32 v1, 0xb8b4, v77
	v_fma_f16 v7, v5, s2, v7
	v_fma_f16 v5, v3, s3, v1
	v_mul_f16_e32 v1, 0xba79, v77
	v_fma_f16 v66, v3, s0, v1
	v_add_f16_e32 v77, v2, v6
	v_sub_f16_e32 v1, v2, v6
	v_add_f16_e32 v78, v81, v8
	v_sub_f16_e32 v2, v81, v8
	;; [unrolled: 2-line block ×11, first 2 shown]
	v_sub_f16_e32 v65, v73, v71
	v_fma_f16 v59, v59, -0.5, v60
	v_add_f16_e32 v63, v63, v65
	v_sub_f16_e32 v65, v58, v70
	v_fma_f16 v66, v65, s14, v59
	v_sub_f16_e32 v68, v76, v67
	v_fma_f16 v59, v65, s1, v59
	v_add_f16_e32 v61, v79, v73
	v_fma_f16 v66, v68, s13, v66
	v_fma_f16 v59, v68, s0, v59
	v_fma_f16 v61, v61, -0.5, v60
	v_fma_f16 v66, v63, s12, v66
	v_fma_f16 v63, v63, s12, v59
	v_sub_f16_e32 v59, v75, v79
	v_sub_f16_e32 v86, v71, v73
	v_add_f16_e32 v59, v59, v86
	v_fma_f16 v86, v68, s1, v61
	v_fma_f16 v61, v68, s14, v61
	v_lshrrev_b32_e32 v62, 16, v60
	v_add_f16_e32 v60, v60, v79
	v_fma_f16 v68, v65, s13, v86
	v_fma_f16 v61, v65, s0, v61
	;; [unrolled: 1-line block ×4, first 2 shown]
	v_add_f16_e32 v59, v60, v75
	v_add_f16_e32 v59, v59, v71
	;; [unrolled: 1-line block ×3, first 2 shown]
	v_sub_f16_e32 v60, v79, v73
	v_sub_f16_e32 v68, v75, v71
	;; [unrolled: 1-line block ×4, first 2 shown]
	v_add_f16_e32 v71, v71, v73
	v_add_f16_e32 v73, v76, v67
	v_fma_f16 v73, v73, -0.5, v62
	v_fma_f16 v75, v60, s1, v73
	v_fma_f16 v73, v60, s14, v73
	;; [unrolled: 1-line block ×6, first 2 shown]
	v_add_f16_e32 v71, v58, v70
	v_fma_f16 v71, v71, -0.5, v62
	v_add_f16_e32 v62, v62, v58
	v_add_f16_e32 v62, v62, v76
	v_sub_f16_e32 v58, v76, v58
	v_add_f16_e32 v62, v62, v67
	v_sub_f16_e32 v67, v67, v70
	v_add_f16_e32 v58, v58, v67
	v_fma_f16 v67, v68, s14, v71
	v_fma_f16 v68, v68, s1, v71
	;; [unrolled: 1-line block ×4, first 2 shown]
	v_add_f16_e32 v62, v62, v70
	v_fma_f16 v70, v58, s12, v67
	v_fma_f16 v71, v58, s12, v60
	v_sub_f16_e32 v58, v55, v57
	v_sub_f16_e32 v60, v74, v72
	v_add_f16_e32 v58, v58, v60
	v_add_f16_e32 v60, v57, v72
	v_fma_f16 v60, v60, -0.5, v20
	v_sub_f16_e32 v67, v54, v64
	v_fma_f16 v68, v67, s14, v60
	v_sub_f16_e32 v76, v56, v69
	v_fma_f16 v60, v67, s1, v60
	v_fma_f16 v68, v76, s13, v68
	;; [unrolled: 1-line block ×5, first 2 shown]
	v_sub_f16_e32 v60, v57, v55
	v_sub_f16_e32 v79, v72, v74
	v_add_f16_e32 v60, v60, v79
	v_add_f16_e32 v79, v55, v74
	v_fma_f16 v79, v79, -0.5, v20
	v_fma_f16 v86, v76, s1, v79
	v_fma_f16 v76, v76, s14, v79
	v_add_f16_e32 v20, v20, v55
	v_fma_f16 v79, v67, s13, v86
	v_fma_f16 v67, v67, s0, v76
	v_add_f16_e32 v20, v20, v57
	;; [unrolled: 3-line block ×3, first 2 shown]
	v_sub_f16_e32 v57, v57, v72
	v_sub_f16_e32 v67, v54, v56
	;; [unrolled: 1-line block ×3, first 2 shown]
	v_add_f16_e32 v67, v67, v72
	v_add_f16_e32 v72, v56, v69
	v_sub_f16_e32 v55, v55, v74
	v_fma_f16 v72, v72, -0.5, v19
	v_add_f16_e32 v20, v20, v74
	v_fma_f16 v74, v55, s1, v72
	v_fma_f16 v72, v55, s14, v72
	;; [unrolled: 1-line block ×6, first 2 shown]
	v_add_f16_e32 v72, v54, v64
	v_fma_f16 v72, v72, -0.5, v19
	v_add_f16_e32 v19, v19, v54
	v_add_f16_e32 v19, v19, v56
	;; [unrolled: 1-line block ×3, first 2 shown]
	v_sub_f16_e32 v54, v56, v54
	v_add_f16_e32 v79, v19, v64
	v_sub_f16_e32 v19, v69, v64
	v_add_f16_e32 v19, v54, v19
	v_fma_f16 v54, v57, s14, v72
	v_fma_f16 v56, v57, s1, v72
	;; [unrolled: 1-line block ×5, first 2 shown]
	v_mul_f16_e32 v56, 0x3a79, v74
	v_fma_f16 v19, v19, s12, v55
	v_fma_f16 v64, v68, s0, v56
	v_mul_f16_e32 v56, 0xbb9c, v54
	v_mul_f16_e32 v54, 0x34f2, v54
	v_fma_f16 v72, v76, s1, v54
	v_mul_f16_e32 v54, 0xbb9c, v19
	v_mul_f16_e32 v19, 0xb4f2, v19
	;; [unrolled: 1-line block ×3, first 2 shown]
	v_fma_f16 v74, v60, s1, v19
	v_mul_f16_e32 v19, 0xb8b4, v67
	v_fma_f16 v69, v58, s3, v19
	v_mul_f16_e32 v19, 0xba79, v67
	v_pack_b32_f16 v6, v6, v18
	v_pack_b32_f16 v1, v1, v7
	v_fma_f16 v55, v68, s15, v55
	v_fma_f16 v56, v76, s12, v56
	;; [unrolled: 1-line block ×4, first 2 shown]
	s_barrier
	ds_write2st64_b32 v52, v6, v1 offset0:4 offset1:5
	v_pack_b32_f16 v1, v2, v8
	v_pack_b32_f16 v2, v3, v9
	v_add_f16_e32 v57, v59, v20
	v_sub_f16_e32 v19, v59, v20
	v_add_f16_e32 v58, v66, v55
	v_sub_f16_e32 v20, v66, v55
	;; [unrolled: 2-line block ×5, first 2 shown]
	v_add_f16_e32 v67, v62, v79
	v_add_f16_e32 v68, v75, v64
	v_sub_f16_e32 v63, v75, v64
	v_add_f16_e32 v69, v70, v72
	v_sub_f16_e32 v64, v70, v72
	;; [unrolled: 2-line block ×4, first 2 shown]
	v_pack_b32_f16 v72, v77, v82
	v_pack_b32_f16 v73, v78, v83
	ds_write2st64_b32 v52, v1, v2 offset0:6 offset1:7
	v_pack_b32_f16 v1, v4, v10
	v_pack_b32_f16 v2, v5, v11
	ds_write2st64_b32 v52, v72, v73 offset1:1
	v_pack_b32_f16 v72, v80, v84
	v_pack_b32_f16 v73, v81, v85
	ds_write2st64_b32 v52, v1, v2 offset0:8 offset1:9
	v_pack_b32_f16 v1, v57, v67
	v_pack_b32_f16 v2, v58, v68
	v_sub_f16_e32 v62, v62, v79
	ds_write2st64_b32 v52, v72, v73 offset0:2 offset1:3
	ds_write2st64_b32 v53, v1, v2 offset1:1
	v_pack_b32_f16 v1, v59, v69
	v_pack_b32_f16 v2, v60, v70
	ds_write2st64_b32 v53, v1, v2 offset0:2 offset1:3
	v_pack_b32_f16 v1, v61, v71
	v_pack_b32_f16 v2, v19, v62
	ds_write2st64_b32 v53, v1, v2 offset0:4 offset1:5
	;; [unrolled: 3-line block ×4, first 2 shown]
	s_waitcnt lgkmcnt(0)
	s_barrier
	ds_read2st64_b32 v[1:2], v33 offset1:2
	ds_read2st64_b32 v[3:4], v33 offset0:8 offset1:10
	ds_read2st64_b32 v[5:6], v33 offset0:20 offset1:22
	;; [unrolled: 1-line block ×6, first 2 shown]
	s_waitcnt lgkmcnt(5)
	v_lshrrev_b32_e32 v20, 16, v4
	v_mul_f16_sdwa v76, v15, v20 dst_sel:DWORD dst_unused:UNUSED_PAD src0_sel:WORD_1 src1_sel:DWORD
	s_waitcnt lgkmcnt(4)
	v_lshrrev_b32_e32 v60, 16, v5
	v_fma_f16 v76, v15, v4, v76
	v_mul_f16_sdwa v4, v15, v4 dst_sel:DWORD dst_unused:UNUSED_PAD src0_sel:WORD_1 src1_sel:DWORD
	v_fma_f16 v4, v15, v20, -v4
	v_mul_f16_sdwa v15, v16, v60 dst_sel:DWORD dst_unused:UNUSED_PAD src0_sel:WORD_1 src1_sel:DWORD
	v_fma_f16 v15, v16, v5, v15
	v_mul_f16_sdwa v5, v16, v5 dst_sel:DWORD dst_unused:UNUSED_PAD src0_sel:WORD_1 src1_sel:DWORD
	s_waitcnt lgkmcnt(3)
	v_lshrrev_b32_e32 v61, 16, v8
	v_lshrrev_b32_e32 v64, 16, v6
	ds_read2st64_b32 v[54:55], v33 offset0:24 offset1:26
	v_fma_f16 v5, v16, v60, -v5
	v_mul_f16_sdwa v16, v17, v8 dst_sel:DWORD dst_unused:UNUSED_PAD src0_sel:WORD_1 src1_sel:DWORD
	s_waitcnt lgkmcnt(3)
	v_lshrrev_b32_e32 v63, 16, v9
	v_fma_f16 v16, v17, v61, -v16
	v_mul_f16_sdwa v20, v17, v61 dst_sel:DWORD dst_unused:UNUSED_PAD src0_sel:WORD_1 src1_sel:DWORD
	v_mul_f16_sdwa v60, v13, v64 dst_sel:DWORD dst_unused:UNUSED_PAD src0_sel:WORD_1 src1_sel:DWORD
	;; [unrolled: 1-line block ×3, first 2 shown]
	s_waitcnt lgkmcnt(2)
	v_lshrrev_b32_e32 v65, 16, v18
	v_fma_f16 v60, v13, v6, v60
	v_mul_f16_sdwa v6, v13, v6 dst_sel:DWORD dst_unused:UNUSED_PAD src0_sel:WORD_1 src1_sel:DWORD
	v_fma_f16 v61, v12, v63, -v61
	v_mul_f16_sdwa v63, v12, v63 dst_sel:DWORD dst_unused:UNUSED_PAD src0_sel:WORD_1 src1_sel:DWORD
	v_lshrrev_b32_e32 v67, 16, v10
	ds_read2st64_b32 v[56:57], v33 offset0:16 offset1:18
	v_fma_f16 v9, v12, v9, v63
	v_fma_f16 v6, v13, v64, -v6
	v_mul_f16_sdwa v12, v14, v18 dst_sel:DWORD dst_unused:UNUSED_PAD src0_sel:WORD_1 src1_sel:DWORD
	v_mul_f16_sdwa v13, v14, v65 dst_sel:DWORD dst_unused:UNUSED_PAD src0_sel:WORD_1 src1_sel:DWORD
	v_fma_f16 v12, v14, v65, -v12
	v_fma_f16 v13, v14, v18, v13
	v_mul_f16_sdwa v14, v21, v67 dst_sel:DWORD dst_unused:UNUSED_PAD src0_sel:WORD_1 src1_sel:DWORD
	s_waitcnt lgkmcnt(1)
	v_lshrrev_b32_e32 v68, 16, v54
	v_fma_f16 v14, v21, v10, v14
	v_mul_f16_sdwa v10, v21, v10 dst_sel:DWORD dst_unused:UNUSED_PAD src0_sel:WORD_1 src1_sel:DWORD
	ds_read2st64_b32 v[58:59], v33 offset0:36 offset1:38
	v_lshrrev_b32_e32 v69, 16, v19
	v_fma_f16 v10, v21, v67, -v10
	v_mul_f16_sdwa v18, v22, v68 dst_sel:DWORD dst_unused:UNUSED_PAD src0_sel:WORD_1 src1_sel:DWORD
	v_mul_f16_sdwa v21, v22, v54 dst_sel:DWORD dst_unused:UNUSED_PAD src0_sel:WORD_1 src1_sel:DWORD
	v_fma_f16 v18, v22, v54, v18
	v_fma_f16 v21, v22, v68, -v21
	v_mul_f16_sdwa v22, v23, v69 dst_sel:DWORD dst_unused:UNUSED_PAD src0_sel:WORD_1 src1_sel:DWORD
	s_waitcnt lgkmcnt(1)
	v_lshrrev_b32_e32 v71, 16, v56
	v_fma_f16 v22, v23, v19, v22
	v_mul_f16_sdwa v19, v23, v19 dst_sel:DWORD dst_unused:UNUSED_PAD src0_sel:WORD_1 src1_sel:DWORD
	v_lshrrev_b32_e32 v72, 16, v55
	v_fma_f16 v19, v23, v69, -v19
	v_mul_f16_sdwa v23, v24, v71 dst_sel:DWORD dst_unused:UNUSED_PAD src0_sel:WORD_1 src1_sel:DWORD
	v_mul_f16_sdwa v54, v24, v56 dst_sel:DWORD dst_unused:UNUSED_PAD src0_sel:WORD_1 src1_sel:DWORD
	v_fma_f16 v23, v24, v56, v23
	v_fma_f16 v24, v24, v71, -v54
	v_mul_f16_sdwa v54, v25, v72 dst_sel:DWORD dst_unused:UNUSED_PAD src0_sel:WORD_1 src1_sel:DWORD
	s_waitcnt lgkmcnt(0)
	v_lshrrev_b32_e32 v73, 16, v58
	v_fma_f16 v54, v25, v55, v54
	v_mul_f16_sdwa v55, v25, v55 dst_sel:DWORD dst_unused:UNUSED_PAD src0_sel:WORD_1 src1_sel:DWORD
	v_lshrrev_b32_e32 v75, 16, v57
	v_fma_f16 v25, v25, v72, -v55
	v_mul_f16_sdwa v55, v26, v73 dst_sel:DWORD dst_unused:UNUSED_PAD src0_sel:WORD_1 src1_sel:DWORD
	v_mul_f16_sdwa v56, v26, v58 dst_sel:DWORD dst_unused:UNUSED_PAD src0_sel:WORD_1 src1_sel:DWORD
	v_fma_f16 v55, v26, v58, v55
	v_fma_f16 v26, v26, v73, -v56
	v_mul_f16_sdwa v56, v27, v75 dst_sel:DWORD dst_unused:UNUSED_PAD src0_sel:WORD_1 src1_sel:DWORD
	v_fma_f16 v8, v17, v8, v20
	v_lshrrev_b32_e32 v17, 16, v7
	v_fma_f16 v56, v27, v57, v56
	v_mul_f16_sdwa v57, v27, v57 dst_sel:DWORD dst_unused:UNUSED_PAD src0_sel:WORD_1 src1_sel:DWORD
	v_fma_f16 v27, v27, v75, -v57
	v_mul_f16_sdwa v57, v28, v17 dst_sel:DWORD dst_unused:UNUSED_PAD src0_sel:WORD_1 src1_sel:DWORD
	v_lshrrev_b32_e32 v20, 16, v59
	v_fma_f16 v57, v28, v7, v57
	v_mul_f16_sdwa v7, v28, v7 dst_sel:DWORD dst_unused:UNUSED_PAD src0_sel:WORD_1 src1_sel:DWORD
	v_lshrrev_b32_e32 v11, 16, v1
	v_lshrrev_b32_e32 v62, 16, v2
	v_fma_f16 v7, v28, v17, -v7
	v_mul_f16_sdwa v17, v29, v20 dst_sel:DWORD dst_unused:UNUSED_PAD src0_sel:WORD_1 src1_sel:DWORD
	v_mul_f16_sdwa v28, v29, v59 dst_sel:DWORD dst_unused:UNUSED_PAD src0_sel:WORD_1 src1_sel:DWORD
	v_fma_f16 v17, v29, v59, v17
	v_fma_f16 v20, v29, v20, -v28
	v_sub_f16_e32 v15, v1, v15
	v_sub_f16_e32 v5, v11, v5
	;; [unrolled: 1-line block ×8, first 2 shown]
	v_lshrrev_b32_e32 v66, 16, v52
	v_fma_f16 v1, v1, 2.0, -v15
	v_fma_f16 v11, v11, 2.0, -v5
	;; [unrolled: 1-line block ×8, first 2 shown]
	v_lshrrev_b32_e32 v70, 16, v53
	v_lshrrev_b32_e32 v74, 16, v3
	v_sub_f16_e32 v28, v1, v28
	v_sub_f16_e32 v4, v11, v4
	;; [unrolled: 1-line block ×8, first 2 shown]
	v_fma_f16 v1, v1, 2.0, -v28
	v_fma_f16 v11, v11, 2.0, -v4
	;; [unrolled: 1-line block ×4, first 2 shown]
	v_add_f16_e32 v12, v29, v12
	v_sub_f16_e32 v13, v6, v13
	v_fma_f16 v14, v14, 2.0, -v22
	v_fma_f16 v10, v10, 2.0, -v19
	v_add_f16_e32 v19, v18, v19
	v_sub_f16_e32 v22, v21, v22
	v_sub_f16_e32 v54, v53, v54
	;; [unrolled: 1-line block ×9, first 2 shown]
	v_fma_f16 v29, v29, 2.0, -v12
	v_fma_f16 v6, v6, 2.0, -v13
	;; [unrolled: 1-line block ×14, first 2 shown]
	v_pack_b32_f16 v1, v1, v11
	v_pack_b32_f16 v2, v2, v58
	v_add_f16_e32 v16, v15, v16
	v_sub_f16_e32 v8, v5, v8
	v_sub_f16_e32 v14, v52, v14
	;; [unrolled: 1-line block ×7, first 2 shown]
	v_pack_b32_f16 v4, v28, v4
	ds_write2st64_b32 v33, v1, v2 offset1:2
	v_pack_b32_f16 v1, v29, v6
	v_pack_b32_f16 v2, v9, v59
	;; [unrolled: 1-line block ×3, first 2 shown]
	v_fma_f16 v15, v15, 2.0, -v16
	v_fma_f16 v5, v5, 2.0, -v8
	;; [unrolled: 1-line block ×6, first 2 shown]
	v_add_f16_e32 v26, v54, v26
	v_sub_f16_e32 v55, v25, v55
	v_fma_f16 v3, v3, 2.0, -v56
	v_fma_f16 v62, v62, 2.0, -v27
	v_add_f16_e32 v20, v57, v20
	v_sub_f16_e32 v17, v7, v17
	ds_write2st64_b32 v33, v4, v2 offset0:20 offset1:22
	v_pack_b32_f16 v2, v12, v13
	ds_write2st64_b32 v33, v1, v6 offset0:12 offset1:14
	v_pack_b32_f16 v6, v19, v22
	v_fma_f16 v54, v54, 2.0, -v26
	v_fma_f16 v25, v25, 2.0, -v55
	;; [unrolled: 1-line block ×4, first 2 shown]
	v_pack_b32_f16 v5, v15, v5
	v_pack_b32_f16 v4, v52, v60
	ds_write2st64_b32 v33, v2, v6 offset0:32 offset1:34
	v_pack_b32_f16 v2, v53, v61
	v_pack_b32_f16 v3, v3, v62
	ds_write2st64_b32 v33, v4, v2 offset0:4 offset1:6
	v_pack_b32_f16 v2, v54, v25
	ds_write2st64_b32 v33, v3, v5 offset0:8 offset1:10
	v_pack_b32_f16 v3, v57, v7
	v_pack_b32_f16 v8, v16, v8
	;; [unrolled: 1-line block ×4, first 2 shown]
	ds_write2st64_b32 v33, v2, v3 offset0:16 offset1:18
	v_pack_b32_f16 v2, v56, v27
	ds_write2st64_b32 v33, v1, v4 offset0:24 offset1:26
	v_pack_b32_f16 v1, v26, v55
	;; [unrolled: 2-line block ×3, first 2 shown]
	ds_write2st64_b32 v33, v1, v2 offset0:36 offset1:38
	s_waitcnt lgkmcnt(0)
	s_barrier
	ds_read2st64_b32 v[3:4], v33 offset1:2
	s_mov_b32 s2, 0x9999999a
	s_mov_b32 s3, 0x3f399999
	v_mad_u64_u32 v[5:6], s[0:1], s10, v30, 0
	s_waitcnt lgkmcnt(0)
	v_lshrrev_b32_e32 v8, 16, v3
	v_mul_f16_sdwa v1, v51, v8 dst_sel:DWORD dst_unused:UNUSED_PAD src0_sel:WORD_1 src1_sel:DWORD
	v_fma_f16 v1, v51, v3, v1
	v_cvt_f32_f16_e32 v1, v1
	v_mad_u64_u32 v[6:7], s[0:1], s11, v30, v[6:7]
	v_mul_f16_sdwa v3, v51, v3 dst_sel:DWORD dst_unused:UNUSED_PAD src0_sel:WORD_1 src1_sel:DWORD
	v_cvt_f64_f32_e32 v[1:2], v1
	v_fma_f16 v3, v51, v8, -v3
	v_cvt_f32_f16_e32 v3, v3
	s_movk_i32 s10, 0x40f
	v_mul_f64 v[1:2], v[1:2], s[2:3]
	s_mov_b32 s11, 0x8000
	v_lshlrev_b64 v[5:6], 2, v[5:6]
	v_and_or_b32 v1, v2, s6, v1
	v_cmp_ne_u32_e32 vcc, 0, v1
	v_cndmask_b32_e64 v1, 0, 1, vcc
	v_lshrrev_b32_e32 v7, 8, v2
	v_bfe_u32 v9, v2, 20, 11
	v_and_or_b32 v1, v7, s7, v1
	v_sub_u32_e32 v10, 0x3f1, v9
	v_or_b32_e32 v7, 0x1000, v1
	v_med3_i32 v10, v10, 0, 13
	v_lshrrev_b32_e32 v11, v10, v7
	v_lshlrev_b32_e32 v10, v10, v11
	v_cmp_ne_u32_e32 vcc, v10, v7
	v_cndmask_b32_e64 v7, 0, 1, vcc
	v_add_u32_e32 v10, 0xfffffc10, v9
	v_or_b32_e32 v7, v11, v7
	v_lshl_or_b32 v9, v10, 12, v1
	v_cmp_gt_i32_e32 vcc, 1, v10
	v_cndmask_b32_e32 v7, v9, v7, vcc
	v_and_b32_e32 v9, 7, v7
	v_cmp_lt_i32_e32 vcc, 5, v9
	v_cmp_eq_u32_e64 s[0:1], 3, v9
	v_cvt_f64_f32_e32 v[8:9], v3
	v_lshrrev_b32_e32 v7, 2, v7
	s_or_b64 vcc, s[0:1], vcc
	v_addc_co_u32_e32 v11, vcc, 0, v7, vcc
	v_mul_f64 v[8:9], v[8:9], s[2:3]
	v_mov_b32_e32 v7, 0x7c00
	v_cmp_gt_i32_e32 vcc, 31, v10
	v_cndmask_b32_e32 v3, v7, v11, vcc
	v_cmp_ne_u32_e32 vcc, 0, v1
	v_cndmask_b32_e64 v1, 0, 1, vcc
	v_lshl_or_b32 v1, v1, 9, v7
	v_cmp_eq_u32_e32 vcc, s10, v10
	v_cndmask_b32_e32 v1, v3, v1, vcc
	v_lshrrev_b32_e32 v2, 16, v2
	v_and_or_b32 v12, v2, s11, v1
	v_and_or_b32 v1, v9, s6, v8
	v_cmp_ne_u32_e32 vcc, 0, v1
	v_cndmask_b32_e64 v1, 0, 1, vcc
	v_lshrrev_b32_e32 v2, 8, v9
	v_bfe_u32 v3, v9, 20, 11
	v_and_or_b32 v1, v2, s7, v1
	v_sub_u32_e32 v8, 0x3f1, v3
	v_or_b32_e32 v2, 0x1000, v1
	v_med3_i32 v8, v8, 0, 13
	v_lshrrev_b32_e32 v10, v8, v2
	v_lshlrev_b32_e32 v8, v8, v10
	v_cmp_ne_u32_e32 vcc, v8, v2
	v_cndmask_b32_e64 v2, 0, 1, vcc
	v_add_u32_e32 v3, 0xfffffc10, v3
	v_or_b32_e32 v2, v10, v2
	v_lshl_or_b32 v8, v3, 12, v1
	v_cmp_gt_i32_e32 vcc, 1, v3
	v_cndmask_b32_e32 v2, v8, v2, vcc
	v_and_b32_e32 v8, 7, v2
	v_cmp_lt_i32_e32 vcc, 5, v8
	v_cmp_eq_u32_e64 s[0:1], 3, v8
	v_lshrrev_b32_e32 v2, 2, v2
	s_or_b64 vcc, s[0:1], vcc
	v_addc_co_u32_e32 v2, vcc, 0, v2, vcc
	v_cmp_gt_i32_e32 vcc, 31, v3
	v_cndmask_b32_e32 v2, v7, v2, vcc
	v_cmp_ne_u32_e32 vcc, 0, v1
	v_cndmask_b32_e64 v1, 0, 1, vcc
	v_lshl_or_b32 v1, v1, 9, v7
	v_cmp_eq_u32_e32 vcc, s10, v3
	v_mad_u64_u32 v[10:11], s[0:1], s8, v0, 0
	v_cndmask_b32_e32 v13, v2, v1, vcc
	ds_read2st64_b32 v[1:2], v33 offset0:8 offset1:10
	v_mov_b32_e32 v3, v11
	v_lshrrev_b32_e32 v14, 16, v9
	v_mad_u64_u32 v[8:9], s[0:1], s9, v0, v[3:4]
	s_waitcnt lgkmcnt(0)
	v_lshrrev_b32_e32 v0, 16, v2
	v_mul_f16_sdwa v3, v50, v0 dst_sel:DWORD dst_unused:UNUSED_PAD src0_sel:WORD_1 src1_sel:DWORD
	v_fma_f16 v3, v50, v2, v3
	v_cvt_f32_f16_e32 v3, v3
	v_mov_b32_e32 v11, v8
	v_and_or_b32 v13, v14, s11, v13
	v_and_b32_e32 v12, 0xffff, v12
	v_cvt_f64_f32_e32 v[8:9], v3
	v_lshl_or_b32 v3, v13, 16, v12
	v_mov_b32_e32 v12, s5
	v_add_co_u32_e32 v13, vcc, s4, v5
	v_mul_f64 v[8:9], v[8:9], s[2:3]
	v_addc_co_u32_e32 v12, vcc, v12, v6, vcc
	v_lshlrev_b64 v[5:6], 2, v[10:11]
	v_mul_f16_sdwa v2, v50, v2 dst_sel:DWORD dst_unused:UNUSED_PAD src0_sel:WORD_1 src1_sel:DWORD
	v_add_co_u32_e32 v10, vcc, v13, v5
	v_addc_co_u32_e32 v11, vcc, v12, v6, vcc
	global_store_dword v[10:11], v3, off
	v_and_or_b32 v3, v9, s6, v8
	v_cmp_ne_u32_e32 vcc, 0, v3
	v_cndmask_b32_e64 v3, 0, 1, vcc
	v_lshrrev_b32_e32 v5, 8, v9
	v_bfe_u32 v6, v9, 20, 11
	v_and_or_b32 v5, v5, s7, v3
	v_sub_u32_e32 v8, 0x3f1, v6
	v_or_b32_e32 v3, 0x1000, v5
	v_med3_i32 v8, v8, 0, 13
	v_lshrrev_b32_e32 v12, v8, v3
	v_lshlrev_b32_e32 v8, v8, v12
	v_cmp_ne_u32_e32 vcc, v8, v3
	v_fma_f16 v0, v50, v0, -v2
	v_cndmask_b32_e64 v3, 0, 1, vcc
	v_add_u32_e32 v6, 0xfffffc10, v6
	v_cvt_f32_f16_e32 v0, v0
	v_or_b32_e32 v3, v12, v3
	v_lshl_or_b32 v8, v6, 12, v5
	v_cmp_gt_i32_e32 vcc, 1, v6
	v_cndmask_b32_e32 v3, v8, v3, vcc
	v_and_b32_e32 v8, 7, v3
	v_cmp_lt_i32_e32 vcc, 5, v8
	v_cmp_eq_u32_e64 s[0:1], 3, v8
	v_lshrrev_b32_e32 v8, 2, v3
	v_cvt_f64_f32_e32 v[2:3], v0
	s_or_b64 vcc, s[0:1], vcc
	v_addc_co_u32_e32 v0, vcc, 0, v8, vcc
	v_mul_f64 v[2:3], v[2:3], s[2:3]
	v_cmp_gt_i32_e32 vcc, 31, v6
	v_cndmask_b32_e32 v0, v7, v0, vcc
	v_cmp_ne_u32_e32 vcc, 0, v5
	v_cndmask_b32_e64 v5, 0, 1, vcc
	v_lshl_or_b32 v5, v5, 9, v7
	v_cmp_eq_u32_e32 vcc, s10, v6
	v_cndmask_b32_e32 v0, v0, v5, vcc
	v_and_or_b32 v2, v3, s6, v2
	v_lshrrev_b32_e32 v5, 16, v9
	v_cmp_ne_u32_e32 vcc, 0, v2
	v_and_or_b32 v0, v5, s11, v0
	v_cndmask_b32_e64 v2, 0, 1, vcc
	v_lshrrev_b32_e32 v5, 8, v3
	v_bfe_u32 v6, v3, 20, 11
	v_and_or_b32 v2, v5, s7, v2
	v_sub_u32_e32 v8, 0x3f1, v6
	v_or_b32_e32 v5, 0x1000, v2
	v_med3_i32 v8, v8, 0, 13
	v_lshrrev_b32_e32 v9, v8, v5
	v_lshlrev_b32_e32 v8, v8, v9
	v_cmp_ne_u32_e32 vcc, v8, v5
	v_cndmask_b32_e64 v5, 0, 1, vcc
	v_add_u32_e32 v8, 0xfffffc10, v6
	v_or_b32_e32 v5, v9, v5
	v_lshl_or_b32 v6, v8, 12, v2
	v_cmp_gt_i32_e32 vcc, 1, v8
	v_cndmask_b32_e32 v5, v6, v5, vcc
	v_and_b32_e32 v6, 7, v5
	v_cmp_lt_i32_e32 vcc, 5, v6
	v_cmp_eq_u32_e64 s[0:1], 3, v6
	v_lshrrev_b32_e32 v5, 2, v5
	s_or_b64 vcc, s[0:1], vcc
	v_addc_co_u32_e32 v5, vcc, 0, v5, vcc
	v_cmp_gt_i32_e32 vcc, 31, v8
	v_cndmask_b32_e32 v9, v7, v5, vcc
	ds_read2st64_b32 v[5:6], v33 offset0:20 offset1:22
	v_cmp_ne_u32_e32 vcc, 0, v2
	v_cndmask_b32_e64 v2, 0, 1, vcc
	v_cmp_eq_u32_e32 vcc, s10, v8
	v_lshl_or_b32 v2, v2, 9, v7
	s_waitcnt lgkmcnt(0)
	v_lshrrev_b32_e32 v12, 16, v5
	v_mul_f16_sdwa v8, v49, v12 dst_sel:DWORD dst_unused:UNUSED_PAD src0_sel:WORD_1 src1_sel:DWORD
	v_fma_f16 v8, v49, v5, v8
	v_cvt_f32_f16_e32 v8, v8
	v_cndmask_b32_e32 v2, v9, v2, vcc
	v_lshrrev_b32_e32 v3, 16, v3
	v_and_or_b32 v2, v3, s11, v2
	v_and_b32_e32 v0, 0xffff, v0
	v_lshl_or_b32 v0, v2, 16, v0
	v_cvt_f64_f32_e32 v[2:3], v8
	s_mul_i32 s0, s9, 0xa00
	s_mul_hi_u32 s4, s8, 0xa00
	s_add_i32 s4, s4, s0
	v_mul_f64 v[2:3], v[2:3], s[2:3]
	s_mul_i32 s5, s8, 0xa00
	v_mov_b32_e32 v9, s4
	v_add_co_u32_e32 v8, vcc, s5, v10
	v_addc_co_u32_e32 v9, vcc, v11, v9, vcc
	global_store_dword v[8:9], v0, off
	v_and_or_b32 v0, v3, s6, v2
	v_cmp_ne_u32_e32 vcc, 0, v0
	v_cndmask_b32_e64 v0, 0, 1, vcc
	v_lshrrev_b32_e32 v2, 8, v3
	v_bfe_u32 v10, v3, 20, 11
	v_and_or_b32 v0, v2, s7, v0
	v_sub_u32_e32 v11, 0x3f1, v10
	v_or_b32_e32 v2, 0x1000, v0
	v_med3_i32 v11, v11, 0, 13
	v_lshrrev_b32_e32 v13, v11, v2
	v_lshlrev_b32_e32 v11, v11, v13
	v_cmp_ne_u32_e32 vcc, v11, v2
	v_mul_f16_sdwa v5, v49, v5 dst_sel:DWORD dst_unused:UNUSED_PAD src0_sel:WORD_1 src1_sel:DWORD
	v_cndmask_b32_e64 v2, 0, 1, vcc
	v_fma_f16 v5, v49, v12, -v5
	v_or_b32_e32 v2, v13, v2
	v_add_u32_e32 v13, 0xfffffc10, v10
	v_cvt_f32_f16_e32 v5, v5
	v_lshl_or_b32 v10, v13, 12, v0
	v_cmp_gt_i32_e32 vcc, 1, v13
	v_cndmask_b32_e32 v2, v10, v2, vcc
	v_and_b32_e32 v10, 7, v2
	v_cmp_lt_i32_e32 vcc, 5, v10
	v_cmp_eq_u32_e64 s[0:1], 3, v10
	v_cvt_f64_f32_e32 v[10:11], v5
	v_lshrrev_b32_e32 v2, 2, v2
	s_or_b64 vcc, s[0:1], vcc
	v_addc_co_u32_e32 v2, vcc, 0, v2, vcc
	v_mul_f64 v[10:11], v[10:11], s[2:3]
	v_cmp_gt_i32_e32 vcc, 31, v13
	v_cndmask_b32_e32 v2, v7, v2, vcc
	v_cmp_ne_u32_e32 vcc, 0, v0
	v_cndmask_b32_e64 v0, 0, 1, vcc
	v_lshl_or_b32 v0, v0, 9, v7
	v_cmp_eq_u32_e32 vcc, s10, v13
	v_cndmask_b32_e32 v0, v2, v0, vcc
	v_lshrrev_b32_e32 v2, 16, v3
	v_and_or_b32 v0, v2, s11, v0
	v_and_or_b32 v2, v11, s6, v10
	v_cmp_ne_u32_e32 vcc, 0, v2
	v_cndmask_b32_e64 v2, 0, 1, vcc
	v_lshrrev_b32_e32 v3, 8, v11
	v_and_or_b32 v5, v3, s7, v2
	v_bfe_u32 v3, v11, 20, 11
	v_sub_u32_e32 v10, 0x3f1, v3
	v_or_b32_e32 v2, 0x1000, v5
	v_med3_i32 v10, v10, 0, 13
	v_lshrrev_b32_e32 v12, v10, v2
	v_lshlrev_b32_e32 v10, v10, v12
	v_cmp_ne_u32_e32 vcc, v10, v2
	v_cndmask_b32_e64 v2, 0, 1, vcc
	v_add_u32_e32 v10, 0xfffffc10, v3
	v_or_b32_e32 v2, v12, v2
	v_lshl_or_b32 v3, v10, 12, v5
	v_cmp_gt_i32_e32 vcc, 1, v10
	v_cndmask_b32_e32 v2, v3, v2, vcc
	v_and_b32_e32 v3, 7, v2
	v_cmp_lt_i32_e32 vcc, 5, v3
	v_cmp_eq_u32_e64 s[0:1], 3, v3
	v_lshrrev_b32_e32 v2, 2, v2
	s_or_b64 vcc, s[0:1], vcc
	v_addc_co_u32_e32 v12, vcc, 0, v2, vcc
	ds_read2st64_b32 v[2:3], v33 offset0:28 offset1:30
	v_cmp_gt_i32_e32 vcc, 31, v10
	v_cndmask_b32_e32 v12, v7, v12, vcc
	v_cmp_ne_u32_e32 vcc, 0, v5
	v_cndmask_b32_e64 v5, 0, 1, vcc
	s_waitcnt lgkmcnt(0)
	v_lshrrev_b32_e32 v14, 16, v3
	v_mul_f16_sdwa v13, v48, v14 dst_sel:DWORD dst_unused:UNUSED_PAD src0_sel:WORD_1 src1_sel:DWORD
	v_fma_f16 v13, v48, v3, v13
	v_cvt_f32_f16_e32 v13, v13
	v_lshl_or_b32 v5, v5, 9, v7
	v_cmp_eq_u32_e32 vcc, s10, v10
	v_cndmask_b32_e32 v5, v12, v5, vcc
	v_cvt_f64_f32_e32 v[12:13], v13
	v_lshrrev_b32_e32 v10, 16, v11
	v_and_or_b32 v5, v10, s11, v5
	v_and_b32_e32 v0, 0xffff, v0
	v_mul_f64 v[10:11], v[12:13], s[2:3]
	v_lshl_or_b32 v0, v5, 16, v0
	v_mov_b32_e32 v5, s4
	v_add_co_u32_e32 v8, vcc, s5, v8
	v_addc_co_u32_e32 v9, vcc, v9, v5, vcc
	global_store_dword v[8:9], v0, off
	v_and_or_b32 v0, v11, s6, v10
	v_cmp_ne_u32_e32 vcc, 0, v0
	v_cndmask_b32_e64 v0, 0, 1, vcc
	v_lshrrev_b32_e32 v5, 8, v11
	v_bfe_u32 v10, v11, 20, 11
	v_and_or_b32 v0, v5, s7, v0
	v_sub_u32_e32 v12, 0x3f1, v10
	v_or_b32_e32 v5, 0x1000, v0
	v_med3_i32 v12, v12, 0, 13
	v_lshrrev_b32_e32 v13, v12, v5
	v_lshlrev_b32_e32 v12, v12, v13
	v_mul_f16_sdwa v3, v48, v3 dst_sel:DWORD dst_unused:UNUSED_PAD src0_sel:WORD_1 src1_sel:DWORD
	v_cmp_ne_u32_e32 vcc, v12, v5
	v_fma_f16 v3, v48, v14, -v3
	v_cndmask_b32_e64 v5, 0, 1, vcc
	v_add_u32_e32 v10, 0xfffffc10, v10
	v_cvt_f32_f16_e32 v3, v3
	v_or_b32_e32 v5, v13, v5
	v_lshl_or_b32 v12, v10, 12, v0
	v_cmp_gt_i32_e32 vcc, 1, v10
	v_cndmask_b32_e32 v5, v12, v5, vcc
	v_and_b32_e32 v12, 7, v5
	v_cmp_lt_i32_e32 vcc, 5, v12
	v_cmp_eq_u32_e64 s[0:1], 3, v12
	v_cvt_f64_f32_e32 v[12:13], v3
	v_lshrrev_b32_e32 v5, 2, v5
	s_or_b64 vcc, s[0:1], vcc
	v_addc_co_u32_e32 v3, vcc, 0, v5, vcc
	v_mul_f64 v[12:13], v[12:13], s[2:3]
	v_cmp_gt_i32_e32 vcc, 31, v10
	v_cndmask_b32_e32 v3, v7, v3, vcc
	v_cmp_ne_u32_e32 vcc, 0, v0
	v_cndmask_b32_e64 v0, 0, 1, vcc
	v_lshl_or_b32 v0, v0, 9, v7
	v_cmp_eq_u32_e32 vcc, s10, v10
	v_cndmask_b32_e32 v0, v3, v0, vcc
	v_lshrrev_b32_e32 v3, 16, v11
	v_and_or_b32 v0, v3, s11, v0
	v_and_or_b32 v3, v13, s6, v12
	v_cmp_ne_u32_e32 vcc, 0, v3
	v_cndmask_b32_e64 v3, 0, 1, vcc
	v_lshrrev_b32_e32 v5, 8, v13
	v_bfe_u32 v10, v13, 20, 11
	v_and_or_b32 v3, v5, s7, v3
	v_sub_u32_e32 v11, 0x3f1, v10
	v_or_b32_e32 v5, 0x1000, v3
	v_med3_i32 v11, v11, 0, 13
	v_lshrrev_b32_e32 v12, v11, v5
	v_lshlrev_b32_e32 v11, v11, v12
	v_cmp_ne_u32_e32 vcc, v11, v5
	v_cndmask_b32_e64 v5, 0, 1, vcc
	v_add_u32_e32 v10, 0xfffffc10, v10
	v_or_b32_e32 v5, v12, v5
	v_lshl_or_b32 v11, v10, 12, v3
	v_cmp_gt_i32_e32 vcc, 1, v10
	v_cndmask_b32_e32 v5, v11, v5, vcc
	v_and_b32_e32 v11, 7, v5
	v_lshrrev_b32_e32 v12, 16, v4
	v_cmp_lt_i32_e32 vcc, 5, v11
	v_cmp_eq_u32_e64 s[0:1], 3, v11
	v_mul_f16_sdwa v11, v47, v12 dst_sel:DWORD dst_unused:UNUSED_PAD src0_sel:WORD_1 src1_sel:DWORD
	v_fma_f16 v11, v47, v4, v11
	v_lshrrev_b32_e32 v5, 2, v5
	s_or_b64 vcc, s[0:1], vcc
	v_cvt_f32_f16_e32 v11, v11
	v_addc_co_u32_e32 v5, vcc, 0, v5, vcc
	v_cmp_gt_i32_e32 vcc, 31, v10
	v_cndmask_b32_e32 v5, v7, v5, vcc
	v_cmp_ne_u32_e32 vcc, 0, v3
	v_cndmask_b32_e64 v3, 0, 1, vcc
	v_cmp_eq_u32_e32 vcc, s10, v10
	v_cvt_f64_f32_e32 v[10:11], v11
	v_lshl_or_b32 v3, v3, 9, v7
	v_cndmask_b32_e32 v3, v5, v3, vcc
	v_lshrrev_b32_e32 v5, 16, v13
	v_mul_f64 v[10:11], v[10:11], s[2:3]
	v_and_or_b32 v3, v5, s11, v3
	v_and_b32_e32 v0, 0xffff, v0
	v_lshl_or_b32 v0, v3, 16, v0
	v_mov_b32_e32 v3, s4
	v_add_co_u32_e32 v8, vcc, s5, v8
	v_addc_co_u32_e32 v9, vcc, v9, v3, vcc
	global_store_dword v[8:9], v0, off
	v_and_or_b32 v0, v11, s6, v10
	v_cmp_ne_u32_e32 vcc, 0, v0
	v_cndmask_b32_e64 v0, 0, 1, vcc
	v_lshrrev_b32_e32 v3, 8, v11
	v_bfe_u32 v5, v11, 20, 11
	v_and_or_b32 v0, v3, s7, v0
	v_sub_u32_e32 v10, 0x3f1, v5
	v_or_b32_e32 v3, 0x1000, v0
	v_med3_i32 v10, v10, 0, 13
	v_lshrrev_b32_e32 v13, v10, v3
	v_lshlrev_b32_e32 v10, v10, v13
	v_mul_f16_sdwa v4, v47, v4 dst_sel:DWORD dst_unused:UNUSED_PAD src0_sel:WORD_1 src1_sel:DWORD
	v_cmp_ne_u32_e32 vcc, v10, v3
	v_fma_f16 v4, v47, v12, -v4
	v_cndmask_b32_e64 v3, 0, 1, vcc
	v_add_u32_e32 v10, 0xfffffc10, v5
	v_cvt_f32_f16_e32 v4, v4
	v_or_b32_e32 v3, v13, v3
	v_lshl_or_b32 v5, v10, 12, v0
	v_cmp_gt_i32_e32 vcc, 1, v10
	v_cndmask_b32_e32 v3, v5, v3, vcc
	v_and_b32_e32 v5, 7, v3
	v_cmp_lt_i32_e32 vcc, 5, v5
	v_cmp_eq_u32_e64 s[0:1], 3, v5
	v_lshrrev_b32_e32 v5, 2, v3
	v_cvt_f64_f32_e32 v[3:4], v4
	s_or_b64 vcc, s[0:1], vcc
	v_addc_co_u32_e32 v5, vcc, 0, v5, vcc
	v_cmp_gt_i32_e32 vcc, 31, v10
	v_cndmask_b32_e32 v12, v7, v5, vcc
	v_mul_f64 v[4:5], v[3:4], s[2:3]
	v_cmp_ne_u32_e32 vcc, 0, v0
	v_cndmask_b32_e64 v0, 0, 1, vcc
	v_lshl_or_b32 v0, v0, 9, v7
	v_cmp_eq_u32_e32 vcc, s10, v10
	v_cndmask_b32_e32 v0, v12, v0, vcc
	v_lshrrev_b32_e32 v3, 16, v11
	v_and_or_b32 v0, v3, s11, v0
	v_and_or_b32 v3, v5, s6, v4
	v_cmp_ne_u32_e32 vcc, 0, v3
	v_cndmask_b32_e64 v3, 0, 1, vcc
	v_lshrrev_b32_e32 v4, 8, v5
	v_bfe_u32 v10, v5, 20, 11
	v_and_or_b32 v3, v4, s7, v3
	v_sub_u32_e32 v11, 0x3f1, v10
	v_or_b32_e32 v4, 0x1000, v3
	v_med3_i32 v11, v11, 0, 13
	v_lshrrev_b32_e32 v12, v11, v4
	v_lshlrev_b32_e32 v11, v11, v12
	v_cmp_ne_u32_e32 vcc, v11, v4
	v_cndmask_b32_e64 v4, 0, 1, vcc
	v_add_u32_e32 v10, 0xfffffc10, v10
	v_or_b32_e32 v4, v12, v4
	v_lshl_or_b32 v11, v10, 12, v3
	v_cmp_gt_i32_e32 vcc, 1, v10
	v_cndmask_b32_e32 v4, v11, v4, vcc
	v_and_b32_e32 v11, 7, v4
	v_cmp_lt_i32_e32 vcc, 5, v11
	v_cmp_eq_u32_e64 s[0:1], 3, v11
	v_lshrrev_b32_e32 v4, 2, v4
	s_or_b64 vcc, s[0:1], vcc
	v_addc_co_u32_e32 v4, vcc, 0, v4, vcc
	v_cmp_gt_i32_e32 vcc, 31, v10
	v_cndmask_b32_e32 v11, v7, v4, vcc
	v_cmp_ne_u32_e32 vcc, 0, v3
	v_cndmask_b32_e64 v3, 0, 1, vcc
	v_lshl_or_b32 v12, v3, 9, v7
	ds_read2st64_b32 v[3:4], v33 offset0:12 offset1:14
	v_cmp_eq_u32_e32 vcc, s10, v10
	v_cndmask_b32_e32 v10, v11, v12, vcc
	v_lshrrev_b32_e32 v5, 16, v5
	v_and_or_b32 v5, v5, s11, v10
	s_waitcnt lgkmcnt(0)
	v_lshrrev_b32_e32 v12, 16, v3
	v_mul_f16_sdwa v10, v46, v12 dst_sel:DWORD dst_unused:UNUSED_PAD src0_sel:WORD_1 src1_sel:DWORD
	v_fma_f16 v10, v46, v3, v10
	v_cvt_f32_f16_e32 v10, v10
	s_mul_hi_u32 s1, s8, 0xffffe400
	s_mul_i32 s0, s9, 0xffffe400
	s_sub_i32 s9, s1, s8
	v_cvt_f64_f32_e32 v[10:11], v10
	v_and_b32_e32 v0, 0xffff, v0
	s_add_i32 s9, s9, s0
	s_mulk_i32 s8, 0xe400
	v_mul_f64 v[10:11], v[10:11], s[2:3]
	v_lshl_or_b32 v0, v5, 16, v0
	v_mov_b32_e32 v5, s9
	v_add_co_u32_e32 v8, vcc, s8, v8
	v_addc_co_u32_e32 v9, vcc, v9, v5, vcc
	global_store_dword v[8:9], v0, off
	v_and_or_b32 v0, v11, s6, v10
	v_cmp_ne_u32_e32 vcc, 0, v0
	v_cndmask_b32_e64 v0, 0, 1, vcc
	v_lshrrev_b32_e32 v5, 8, v11
	v_bfe_u32 v10, v11, 20, 11
	v_and_or_b32 v0, v5, s7, v0
	v_sub_u32_e32 v13, 0x3f1, v10
	v_or_b32_e32 v5, 0x1000, v0
	v_med3_i32 v13, v13, 0, 13
	v_lshrrev_b32_e32 v14, v13, v5
	v_lshlrev_b32_e32 v13, v13, v14
	v_mul_f16_sdwa v3, v46, v3 dst_sel:DWORD dst_unused:UNUSED_PAD src0_sel:WORD_1 src1_sel:DWORD
	v_cmp_ne_u32_e32 vcc, v13, v5
	v_fma_f16 v3, v46, v12, -v3
	v_cndmask_b32_e64 v5, 0, 1, vcc
	v_add_u32_e32 v10, 0xfffffc10, v10
	v_cvt_f32_f16_e32 v3, v3
	v_or_b32_e32 v5, v14, v5
	v_lshl_or_b32 v13, v10, 12, v0
	v_cmp_gt_i32_e32 vcc, 1, v10
	v_cndmask_b32_e32 v5, v13, v5, vcc
	v_and_b32_e32 v13, 7, v5
	v_cmp_lt_i32_e32 vcc, 5, v13
	v_cmp_eq_u32_e64 s[0:1], 3, v13
	v_cvt_f64_f32_e32 v[12:13], v3
	v_lshrrev_b32_e32 v5, 2, v5
	s_or_b64 vcc, s[0:1], vcc
	v_addc_co_u32_e32 v3, vcc, 0, v5, vcc
	v_mul_f64 v[12:13], v[12:13], s[2:3]
	v_cmp_gt_i32_e32 vcc, 31, v10
	v_cndmask_b32_e32 v3, v7, v3, vcc
	v_cmp_ne_u32_e32 vcc, 0, v0
	v_cndmask_b32_e64 v0, 0, 1, vcc
	v_lshl_or_b32 v0, v0, 9, v7
	v_cmp_eq_u32_e32 vcc, s10, v10
	v_cndmask_b32_e32 v0, v3, v0, vcc
	v_lshrrev_b32_e32 v3, 16, v11
	v_and_or_b32 v0, v3, s11, v0
	v_and_or_b32 v3, v13, s6, v12
	v_cmp_ne_u32_e32 vcc, 0, v3
	v_cndmask_b32_e64 v3, 0, 1, vcc
	v_lshrrev_b32_e32 v5, 8, v13
	v_bfe_u32 v10, v13, 20, 11
	v_and_or_b32 v3, v5, s7, v3
	v_sub_u32_e32 v11, 0x3f1, v10
	v_or_b32_e32 v5, 0x1000, v3
	v_med3_i32 v11, v11, 0, 13
	v_lshrrev_b32_e32 v12, v11, v5
	v_lshlrev_b32_e32 v11, v11, v12
	v_cmp_ne_u32_e32 vcc, v11, v5
	v_cndmask_b32_e64 v5, 0, 1, vcc
	v_add_u32_e32 v10, 0xfffffc10, v10
	v_or_b32_e32 v5, v12, v5
	v_lshl_or_b32 v11, v10, 12, v3
	v_cmp_gt_i32_e32 vcc, 1, v10
	v_cndmask_b32_e32 v5, v11, v5, vcc
	v_and_b32_e32 v11, 7, v5
	v_lshrrev_b32_e32 v12, 16, v6
	v_cmp_lt_i32_e32 vcc, 5, v11
	v_cmp_eq_u32_e64 s[0:1], 3, v11
	v_mul_f16_sdwa v11, v44, v12 dst_sel:DWORD dst_unused:UNUSED_PAD src0_sel:WORD_1 src1_sel:DWORD
	v_fma_f16 v11, v44, v6, v11
	v_lshrrev_b32_e32 v5, 2, v5
	s_or_b64 vcc, s[0:1], vcc
	v_cvt_f32_f16_e32 v11, v11
	v_addc_co_u32_e32 v5, vcc, 0, v5, vcc
	v_cmp_gt_i32_e32 vcc, 31, v10
	v_cndmask_b32_e32 v5, v7, v5, vcc
	v_cmp_ne_u32_e32 vcc, 0, v3
	v_cndmask_b32_e64 v3, 0, 1, vcc
	v_cmp_eq_u32_e32 vcc, s10, v10
	v_cvt_f64_f32_e32 v[10:11], v11
	v_lshl_or_b32 v3, v3, 9, v7
	v_cndmask_b32_e32 v3, v5, v3, vcc
	v_lshrrev_b32_e32 v5, 16, v13
	v_mul_f64 v[10:11], v[10:11], s[2:3]
	v_and_or_b32 v3, v5, s11, v3
	v_and_b32_e32 v0, 0xffff, v0
	v_lshl_or_b32 v0, v3, 16, v0
	v_mov_b32_e32 v3, s4
	v_add_co_u32_e32 v8, vcc, s5, v8
	v_addc_co_u32_e32 v9, vcc, v9, v3, vcc
	global_store_dword v[8:9], v0, off
	v_and_or_b32 v0, v11, s6, v10
	v_cmp_ne_u32_e32 vcc, 0, v0
	v_cndmask_b32_e64 v0, 0, 1, vcc
	v_lshrrev_b32_e32 v3, 8, v11
	v_bfe_u32 v5, v11, 20, 11
	v_and_or_b32 v0, v3, s7, v0
	v_sub_u32_e32 v10, 0x3f1, v5
	v_or_b32_e32 v3, 0x1000, v0
	v_med3_i32 v10, v10, 0, 13
	v_lshrrev_b32_e32 v13, v10, v3
	v_lshlrev_b32_e32 v10, v10, v13
	v_mul_f16_sdwa v6, v44, v6 dst_sel:DWORD dst_unused:UNUSED_PAD src0_sel:WORD_1 src1_sel:DWORD
	v_cmp_ne_u32_e32 vcc, v10, v3
	v_fma_f16 v6, v44, v12, -v6
	v_cndmask_b32_e64 v3, 0, 1, vcc
	v_add_u32_e32 v10, 0xfffffc10, v5
	v_cvt_f32_f16_e32 v6, v6
	v_or_b32_e32 v3, v13, v3
	v_lshl_or_b32 v5, v10, 12, v0
	v_cmp_gt_i32_e32 vcc, 1, v10
	v_cndmask_b32_e32 v3, v5, v3, vcc
	v_and_b32_e32 v5, 7, v3
	v_cmp_lt_i32_e32 vcc, 5, v5
	v_cmp_eq_u32_e64 s[0:1], 3, v5
	v_cvt_f64_f32_e32 v[5:6], v6
	v_lshrrev_b32_e32 v3, 2, v3
	s_or_b64 vcc, s[0:1], vcc
	v_addc_co_u32_e32 v3, vcc, 0, v3, vcc
	v_mul_f64 v[12:13], v[5:6], s[2:3]
	v_cmp_gt_i32_e32 vcc, 31, v10
	v_cndmask_b32_e32 v3, v7, v3, vcc
	v_cmp_ne_u32_e32 vcc, 0, v0
	v_cndmask_b32_e64 v0, 0, 1, vcc
	v_lshl_or_b32 v0, v0, 9, v7
	v_cmp_eq_u32_e32 vcc, s10, v10
	v_cndmask_b32_e32 v0, v3, v0, vcc
	v_lshrrev_b32_e32 v3, 16, v11
	v_and_or_b32 v0, v3, s11, v0
	v_and_or_b32 v3, v13, s6, v12
	v_cmp_ne_u32_e32 vcc, 0, v3
	v_cndmask_b32_e64 v3, 0, 1, vcc
	v_lshrrev_b32_e32 v5, 8, v13
	v_bfe_u32 v6, v13, 20, 11
	v_and_or_b32 v3, v5, s7, v3
	v_sub_u32_e32 v10, 0x3f1, v6
	v_or_b32_e32 v5, 0x1000, v3
	v_med3_i32 v10, v10, 0, 13
	v_lshrrev_b32_e32 v11, v10, v5
	v_lshlrev_b32_e32 v10, v10, v11
	v_cmp_ne_u32_e32 vcc, v10, v5
	v_cndmask_b32_e64 v5, 0, 1, vcc
	v_add_u32_e32 v10, 0xfffffc10, v6
	v_or_b32_e32 v5, v11, v5
	v_lshl_or_b32 v6, v10, 12, v3
	v_cmp_gt_i32_e32 vcc, 1, v10
	v_cndmask_b32_e32 v5, v6, v5, vcc
	v_and_b32_e32 v6, 7, v5
	v_cmp_lt_i32_e32 vcc, 5, v6
	v_cmp_eq_u32_e64 s[0:1], 3, v6
	v_lshrrev_b32_e32 v5, 2, v5
	s_or_b64 vcc, s[0:1], vcc
	v_addc_co_u32_e32 v11, vcc, 0, v5, vcc
	ds_read2st64_b32 v[5:6], v33 offset0:32 offset1:34
	v_cmp_gt_i32_e32 vcc, 31, v10
	v_cndmask_b32_e32 v11, v7, v11, vcc
	v_cmp_ne_u32_e32 vcc, 0, v3
	v_cndmask_b32_e64 v3, 0, 1, vcc
	s_waitcnt lgkmcnt(0)
	v_lshrrev_b32_e32 v12, 16, v5
	v_mul_f16_sdwa v14, v45, v12 dst_sel:DWORD dst_unused:UNUSED_PAD src0_sel:WORD_1 src1_sel:DWORD
	v_fma_f16 v14, v45, v5, v14
	v_cvt_f32_f16_e32 v14, v14
	v_lshl_or_b32 v3, v3, 9, v7
	v_cmp_eq_u32_e32 vcc, s10, v10
	v_cndmask_b32_e32 v3, v11, v3, vcc
	v_cvt_f64_f32_e32 v[10:11], v14
	v_lshrrev_b32_e32 v13, 16, v13
	v_and_or_b32 v3, v13, s11, v3
	v_and_b32_e32 v0, 0xffff, v0
	v_mul_f64 v[10:11], v[10:11], s[2:3]
	v_lshl_or_b32 v0, v3, 16, v0
	v_mov_b32_e32 v3, s4
	v_add_co_u32_e32 v8, vcc, s5, v8
	v_addc_co_u32_e32 v9, vcc, v9, v3, vcc
	global_store_dword v[8:9], v0, off
	v_and_or_b32 v0, v11, s6, v10
	v_cmp_ne_u32_e32 vcc, 0, v0
	v_cndmask_b32_e64 v0, 0, 1, vcc
	v_lshrrev_b32_e32 v3, 8, v11
	v_bfe_u32 v10, v11, 20, 11
	v_and_or_b32 v0, v3, s7, v0
	v_sub_u32_e32 v13, 0x3f1, v10
	v_or_b32_e32 v3, 0x1000, v0
	v_med3_i32 v13, v13, 0, 13
	v_lshrrev_b32_e32 v14, v13, v3
	v_lshlrev_b32_e32 v13, v13, v14
	v_mul_f16_sdwa v5, v45, v5 dst_sel:DWORD dst_unused:UNUSED_PAD src0_sel:WORD_1 src1_sel:DWORD
	v_cmp_ne_u32_e32 vcc, v13, v3
	v_fma_f16 v5, v45, v12, -v5
	v_cndmask_b32_e64 v3, 0, 1, vcc
	v_add_u32_e32 v10, 0xfffffc10, v10
	v_cvt_f32_f16_e32 v5, v5
	v_or_b32_e32 v3, v14, v3
	v_lshl_or_b32 v13, v10, 12, v0
	v_cmp_gt_i32_e32 vcc, 1, v10
	v_cndmask_b32_e32 v3, v13, v3, vcc
	v_and_b32_e32 v13, 7, v3
	v_cmp_lt_i32_e32 vcc, 5, v13
	v_cmp_eq_u32_e64 s[0:1], 3, v13
	v_cvt_f64_f32_e32 v[12:13], v5
	v_lshrrev_b32_e32 v3, 2, v3
	s_or_b64 vcc, s[0:1], vcc
	v_addc_co_u32_e32 v3, vcc, 0, v3, vcc
	v_mul_f64 v[12:13], v[12:13], s[2:3]
	v_cmp_gt_i32_e32 vcc, 31, v10
	v_cndmask_b32_e32 v3, v7, v3, vcc
	v_cmp_ne_u32_e32 vcc, 0, v0
	v_cndmask_b32_e64 v0, 0, 1, vcc
	v_lshl_or_b32 v0, v0, 9, v7
	v_cmp_eq_u32_e32 vcc, s10, v10
	v_cndmask_b32_e32 v0, v3, v0, vcc
	v_lshrrev_b32_e32 v3, 16, v11
	v_and_or_b32 v0, v3, s11, v0
	v_and_or_b32 v3, v13, s6, v12
	v_cmp_ne_u32_e32 vcc, 0, v3
	v_cndmask_b32_e64 v3, 0, 1, vcc
	v_lshrrev_b32_e32 v5, 8, v13
	v_bfe_u32 v10, v13, 20, 11
	v_and_or_b32 v3, v5, s7, v3
	v_sub_u32_e32 v11, 0x3f1, v10
	v_or_b32_e32 v5, 0x1000, v3
	v_med3_i32 v11, v11, 0, 13
	v_lshrrev_b32_e32 v12, v11, v5
	v_lshlrev_b32_e32 v11, v11, v12
	v_cmp_ne_u32_e32 vcc, v11, v5
	v_cndmask_b32_e64 v5, 0, 1, vcc
	v_or_b32_e32 v5, v12, v5
	v_add_u32_e32 v12, 0xfffffc10, v10
	v_lshl_or_b32 v10, v12, 12, v3
	v_cmp_gt_i32_e32 vcc, 1, v12
	v_cndmask_b32_e32 v5, v10, v5, vcc
	v_and_b32_e32 v10, 7, v5
	v_cmp_lt_i32_e32 vcc, 5, v10
	v_cmp_eq_u32_e64 s[0:1], 3, v10
	ds_read2st64_b32 v[10:11], v33 offset0:4 offset1:6
	v_lshrrev_b32_e32 v5, 2, v5
	s_or_b64 vcc, s[0:1], vcc
	v_addc_co_u32_e32 v5, vcc, 0, v5, vcc
	s_waitcnt lgkmcnt(0)
	v_lshrrev_b32_e32 v16, 16, v10
	v_mul_f16_sdwa v14, v43, v16 dst_sel:DWORD dst_unused:UNUSED_PAD src0_sel:WORD_1 src1_sel:DWORD
	v_fma_f16 v14, v43, v10, v14
	v_cvt_f32_f16_e32 v14, v14
	v_cmp_gt_i32_e32 vcc, 31, v12
	v_cndmask_b32_e32 v5, v7, v5, vcc
	v_cmp_ne_u32_e32 vcc, 0, v3
	v_cvt_f64_f32_e32 v[14:15], v14
	v_cndmask_b32_e64 v3, 0, 1, vcc
	v_lshl_or_b32 v3, v3, 9, v7
	v_cmp_eq_u32_e32 vcc, s10, v12
	v_cndmask_b32_e32 v3, v5, v3, vcc
	v_lshrrev_b32_e32 v5, 16, v13
	v_mul_f64 v[12:13], v[14:15], s[2:3]
	v_and_or_b32 v3, v5, s11, v3
	v_and_b32_e32 v0, 0xffff, v0
	v_lshl_or_b32 v0, v3, 16, v0
	v_mov_b32_e32 v3, s4
	v_add_co_u32_e32 v8, vcc, s5, v8
	v_addc_co_u32_e32 v9, vcc, v9, v3, vcc
	global_store_dword v[8:9], v0, off
	v_and_or_b32 v0, v13, s6, v12
	v_cmp_ne_u32_e32 vcc, 0, v0
	v_cndmask_b32_e64 v0, 0, 1, vcc
	v_lshrrev_b32_e32 v3, 8, v13
	v_bfe_u32 v5, v13, 20, 11
	v_and_or_b32 v0, v3, s7, v0
	v_sub_u32_e32 v12, 0x3f1, v5
	v_mul_f16_sdwa v10, v43, v10 dst_sel:DWORD dst_unused:UNUSED_PAD src0_sel:WORD_1 src1_sel:DWORD
	v_or_b32_e32 v3, 0x1000, v0
	v_med3_i32 v12, v12, 0, 13
	v_fma_f16 v10, v43, v16, -v10
	v_lshrrev_b32_e32 v14, v12, v3
	v_cvt_f32_f16_e32 v10, v10
	v_lshlrev_b32_e32 v12, v12, v14
	v_cmp_ne_u32_e32 vcc, v12, v3
	v_cndmask_b32_e64 v3, 0, 1, vcc
	v_or_b32_e32 v3, v14, v3
	v_add_u32_e32 v5, 0xfffffc10, v5
	v_cvt_f64_f32_e32 v[14:15], v10
	v_lshl_or_b32 v12, v5, 12, v0
	v_cmp_gt_i32_e32 vcc, 1, v5
	v_cndmask_b32_e32 v3, v12, v3, vcc
	v_and_b32_e32 v12, 7, v3
	v_cmp_lt_i32_e32 vcc, 5, v12
	v_cmp_eq_u32_e64 s[0:1], 3, v12
	v_mul_f64 v[14:15], v[14:15], s[2:3]
	v_lshrrev_b32_e32 v3, 2, v3
	s_or_b64 vcc, s[0:1], vcc
	v_addc_co_u32_e32 v3, vcc, 0, v3, vcc
	v_cmp_gt_i32_e32 vcc, 31, v5
	v_cndmask_b32_e32 v3, v7, v3, vcc
	v_cmp_ne_u32_e32 vcc, 0, v0
	v_cndmask_b32_e64 v0, 0, 1, vcc
	v_lshl_or_b32 v0, v0, 9, v7
	v_cmp_eq_u32_e32 vcc, s10, v5
	v_cndmask_b32_e32 v0, v3, v0, vcc
	v_lshrrev_b32_e32 v3, 16, v13
	v_and_or_b32 v0, v3, s11, v0
	v_and_or_b32 v3, v15, s6, v14
	v_cmp_ne_u32_e32 vcc, 0, v3
	v_cndmask_b32_e64 v3, 0, 1, vcc
	v_lshrrev_b32_e32 v5, 8, v15
	v_bfe_u32 v10, v15, 20, 11
	v_and_or_b32 v3, v5, s7, v3
	v_sub_u32_e32 v12, 0x3f1, v10
	v_or_b32_e32 v5, 0x1000, v3
	v_med3_i32 v12, v12, 0, 13
	v_lshrrev_b32_e32 v13, v12, v5
	v_lshlrev_b32_e32 v12, v12, v13
	v_cmp_ne_u32_e32 vcc, v12, v5
	v_cndmask_b32_e64 v5, 0, 1, vcc
	v_add_u32_e32 v10, 0xfffffc10, v10
	v_or_b32_e32 v5, v13, v5
	v_lshl_or_b32 v12, v10, 12, v3
	v_cmp_gt_i32_e32 vcc, 1, v10
	v_cndmask_b32_e32 v5, v12, v5, vcc
	v_and_b32_e32 v12, 7, v5
	v_lshrrev_b32_e32 v14, 16, v4
	v_cmp_lt_i32_e32 vcc, 5, v12
	v_cmp_eq_u32_e64 s[0:1], 3, v12
	v_mul_f16_sdwa v12, v41, v14 dst_sel:DWORD dst_unused:UNUSED_PAD src0_sel:WORD_1 src1_sel:DWORD
	v_fma_f16 v12, v41, v4, v12
	v_cvt_f32_f16_e32 v12, v12
	v_lshrrev_b32_e32 v5, 2, v5
	s_or_b64 vcc, s[0:1], vcc
	v_addc_co_u32_e32 v5, vcc, 0, v5, vcc
	v_cvt_f64_f32_e32 v[12:13], v12
	v_cmp_gt_i32_e32 vcc, 31, v10
	v_cndmask_b32_e32 v5, v7, v5, vcc
	v_cmp_ne_u32_e32 vcc, 0, v3
	v_mul_f64 v[12:13], v[12:13], s[2:3]
	v_cndmask_b32_e64 v3, 0, 1, vcc
	v_lshl_or_b32 v3, v3, 9, v7
	v_cmp_eq_u32_e32 vcc, s10, v10
	v_cndmask_b32_e32 v3, v5, v3, vcc
	v_lshrrev_b32_e32 v5, 16, v15
	v_and_or_b32 v3, v5, s11, v3
	v_and_b32_e32 v0, 0xffff, v0
	v_lshl_or_b32 v0, v3, 16, v0
	v_mov_b32_e32 v3, s9
	v_add_co_u32_e32 v8, vcc, s8, v8
	v_addc_co_u32_e32 v9, vcc, v9, v3, vcc
	global_store_dword v[8:9], v0, off
	v_and_or_b32 v0, v13, s6, v12
	v_cmp_ne_u32_e32 vcc, 0, v0
	v_cndmask_b32_e64 v0, 0, 1, vcc
	v_lshrrev_b32_e32 v3, 8, v13
	v_bfe_u32 v5, v13, 20, 11
	v_and_or_b32 v0, v3, s7, v0
	v_sub_u32_e32 v10, 0x3f1, v5
	v_or_b32_e32 v3, 0x1000, v0
	v_med3_i32 v10, v10, 0, 13
	v_lshrrev_b32_e32 v12, v10, v3
	v_lshlrev_b32_e32 v10, v10, v12
	v_mul_f16_sdwa v4, v41, v4 dst_sel:DWORD dst_unused:UNUSED_PAD src0_sel:WORD_1 src1_sel:DWORD
	v_cmp_ne_u32_e32 vcc, v10, v3
	v_fma_f16 v4, v41, v14, -v4
	v_cndmask_b32_e64 v3, 0, 1, vcc
	v_add_u32_e32 v5, 0xfffffc10, v5
	v_cvt_f32_f16_e32 v4, v4
	v_or_b32_e32 v3, v12, v3
	v_lshl_or_b32 v10, v5, 12, v0
	v_cmp_gt_i32_e32 vcc, 1, v5
	v_cndmask_b32_e32 v3, v10, v3, vcc
	v_and_b32_e32 v10, 7, v3
	v_cmp_lt_i32_e32 vcc, 5, v10
	v_cmp_eq_u32_e64 s[0:1], 3, v10
	v_lshrrev_b32_e32 v10, 2, v3
	v_cvt_f64_f32_e32 v[3:4], v4
	s_or_b64 vcc, s[0:1], vcc
	v_addc_co_u32_e32 v10, vcc, 0, v10, vcc
	v_mul_f64 v[3:4], v[3:4], s[2:3]
	v_cmp_gt_i32_e32 vcc, 31, v5
	v_cndmask_b32_e32 v10, v7, v10, vcc
	v_cmp_ne_u32_e32 vcc, 0, v0
	v_cndmask_b32_e64 v0, 0, 1, vcc
	v_lshl_or_b32 v0, v0, 9, v7
	v_cmp_eq_u32_e32 vcc, s10, v5
	v_cndmask_b32_e32 v0, v10, v0, vcc
	v_and_or_b32 v3, v4, s6, v3
	v_lshrrev_b32_e32 v5, 16, v13
	v_cmp_ne_u32_e32 vcc, 0, v3
	v_and_or_b32 v0, v5, s11, v0
	v_cndmask_b32_e64 v3, 0, 1, vcc
	v_lshrrev_b32_e32 v5, 8, v4
	v_bfe_u32 v10, v4, 20, 11
	v_and_or_b32 v3, v5, s7, v3
	v_sub_u32_e32 v12, 0x3f1, v10
	v_or_b32_e32 v5, 0x1000, v3
	v_med3_i32 v12, v12, 0, 13
	v_lshrrev_b32_e32 v13, v12, v5
	v_lshlrev_b32_e32 v12, v12, v13
	v_cmp_ne_u32_e32 vcc, v12, v5
	v_cndmask_b32_e64 v5, 0, 1, vcc
	v_add_u32_e32 v10, 0xfffffc10, v10
	v_or_b32_e32 v5, v13, v5
	v_lshl_or_b32 v12, v10, 12, v3
	v_cmp_gt_i32_e32 vcc, 1, v10
	v_cndmask_b32_e32 v5, v12, v5, vcc
	v_and_b32_e32 v12, 7, v5
	v_cmp_lt_i32_e32 vcc, 5, v12
	v_cmp_eq_u32_e64 s[0:1], 3, v12
	ds_read2st64_b32 v[12:13], v33 offset0:24 offset1:26
	v_lshrrev_b32_e32 v5, 2, v5
	s_or_b64 vcc, s[0:1], vcc
	v_addc_co_u32_e32 v5, vcc, 0, v5, vcc
	s_waitcnt lgkmcnt(0)
	v_lshrrev_b32_e32 v16, 16, v12
	v_mul_f16_sdwa v14, v42, v16 dst_sel:DWORD dst_unused:UNUSED_PAD src0_sel:WORD_1 src1_sel:DWORD
	v_fma_f16 v14, v42, v12, v14
	v_cvt_f32_f16_e32 v14, v14
	v_cmp_gt_i32_e32 vcc, 31, v10
	v_cndmask_b32_e32 v5, v7, v5, vcc
	v_cmp_ne_u32_e32 vcc, 0, v3
	v_cvt_f64_f32_e32 v[14:15], v14
	v_cndmask_b32_e64 v3, 0, 1, vcc
	v_lshl_or_b32 v3, v3, 9, v7
	v_cmp_eq_u32_e32 vcc, s10, v10
	v_cndmask_b32_e32 v3, v5, v3, vcc
	v_lshrrev_b32_e32 v4, 16, v4
	v_and_or_b32 v5, v4, s11, v3
	v_mul_f64 v[3:4], v[14:15], s[2:3]
	v_and_b32_e32 v0, 0xffff, v0
	v_lshl_or_b32 v0, v5, 16, v0
	v_mov_b32_e32 v5, s4
	v_add_co_u32_e32 v8, vcc, s5, v8
	v_addc_co_u32_e32 v9, vcc, v9, v5, vcc
	global_store_dword v[8:9], v0, off
	v_and_or_b32 v0, v4, s6, v3
	v_cmp_ne_u32_e32 vcc, 0, v0
	v_cndmask_b32_e64 v0, 0, 1, vcc
	v_lshrrev_b32_e32 v3, 8, v4
	v_bfe_u32 v5, v4, 20, 11
	v_and_or_b32 v0, v3, s7, v0
	v_sub_u32_e32 v10, 0x3f1, v5
	v_mul_f16_sdwa v12, v42, v12 dst_sel:DWORD dst_unused:UNUSED_PAD src0_sel:WORD_1 src1_sel:DWORD
	v_or_b32_e32 v3, 0x1000, v0
	v_med3_i32 v10, v10, 0, 13
	v_fma_f16 v12, v42, v16, -v12
	v_lshrrev_b32_e32 v14, v10, v3
	v_cvt_f32_f16_e32 v12, v12
	v_lshlrev_b32_e32 v10, v10, v14
	v_cmp_ne_u32_e32 vcc, v10, v3
	v_cndmask_b32_e64 v3, 0, 1, vcc
	v_or_b32_e32 v3, v14, v3
	v_add_u32_e32 v5, 0xfffffc10, v5
	v_cvt_f64_f32_e32 v[14:15], v12
	v_lshl_or_b32 v10, v5, 12, v0
	v_cmp_gt_i32_e32 vcc, 1, v5
	v_cndmask_b32_e32 v3, v10, v3, vcc
	v_and_b32_e32 v10, 7, v3
	v_cmp_lt_i32_e32 vcc, 5, v10
	v_cmp_eq_u32_e64 s[0:1], 3, v10
	v_mul_f64 v[14:15], v[14:15], s[2:3]
	v_lshrrev_b32_e32 v3, 2, v3
	s_or_b64 vcc, s[0:1], vcc
	v_addc_co_u32_e32 v3, vcc, 0, v3, vcc
	v_cmp_gt_i32_e32 vcc, 31, v5
	v_cndmask_b32_e32 v3, v7, v3, vcc
	v_cmp_ne_u32_e32 vcc, 0, v0
	v_cndmask_b32_e64 v0, 0, 1, vcc
	v_lshl_or_b32 v0, v0, 9, v7
	v_cmp_eq_u32_e32 vcc, s10, v5
	v_cndmask_b32_e32 v0, v3, v0, vcc
	v_lshrrev_b32_e32 v3, 16, v4
	v_and_or_b32 v0, v3, s11, v0
	v_and_or_b32 v3, v15, s6, v14
	v_cmp_ne_u32_e32 vcc, 0, v3
	v_cndmask_b32_e64 v3, 0, 1, vcc
	v_lshrrev_b32_e32 v4, 8, v15
	v_bfe_u32 v5, v15, 20, 11
	v_and_or_b32 v3, v4, s7, v3
	v_sub_u32_e32 v10, 0x3f1, v5
	v_or_b32_e32 v4, 0x1000, v3
	v_med3_i32 v10, v10, 0, 13
	v_lshrrev_b32_e32 v12, v10, v4
	v_lshlrev_b32_e32 v10, v10, v12
	v_cmp_ne_u32_e32 vcc, v10, v4
	v_cndmask_b32_e64 v4, 0, 1, vcc
	v_add_u32_e32 v5, 0xfffffc10, v5
	v_or_b32_e32 v4, v12, v4
	v_lshl_or_b32 v10, v5, 12, v3
	v_cmp_gt_i32_e32 vcc, 1, v5
	v_cndmask_b32_e32 v4, v10, v4, vcc
	v_and_b32_e32 v10, 7, v4
	v_cmp_lt_i32_e32 vcc, 5, v10
	v_cmp_eq_u32_e64 s[0:1], 3, v10
	v_lshrrev_b32_e32 v10, 16, v6
	v_lshrrev_b32_e32 v4, 2, v4
	s_or_b64 vcc, s[0:1], vcc
	v_mul_f16_sdwa v12, v40, v10 dst_sel:DWORD dst_unused:UNUSED_PAD src0_sel:WORD_1 src1_sel:DWORD
	v_addc_co_u32_e32 v4, vcc, 0, v4, vcc
	v_fma_f16 v12, v40, v6, v12
	v_cmp_gt_i32_e32 vcc, 31, v5
	v_cvt_f32_f16_e32 v12, v12
	v_cndmask_b32_e32 v4, v7, v4, vcc
	v_cmp_ne_u32_e32 vcc, 0, v3
	v_cndmask_b32_e64 v3, 0, 1, vcc
	v_lshl_or_b32 v3, v3, 9, v7
	v_cmp_eq_u32_e32 vcc, s10, v5
	v_cndmask_b32_e32 v5, v4, v3, vcc
	v_cvt_f64_f32_e32 v[3:4], v12
	v_lshrrev_b32_e32 v12, 16, v15
	v_and_or_b32 v5, v12, s11, v5
	v_and_b32_e32 v0, 0xffff, v0
	v_mul_f64 v[3:4], v[3:4], s[2:3]
	v_lshl_or_b32 v0, v5, 16, v0
	v_mov_b32_e32 v5, s4
	v_add_co_u32_e32 v8, vcc, s5, v8
	v_addc_co_u32_e32 v9, vcc, v9, v5, vcc
	global_store_dword v[8:9], v0, off
	v_and_or_b32 v0, v4, s6, v3
	v_cmp_ne_u32_e32 vcc, 0, v0
	v_cndmask_b32_e64 v0, 0, 1, vcc
	v_lshrrev_b32_e32 v3, 8, v4
	v_bfe_u32 v5, v4, 20, 11
	v_and_or_b32 v0, v3, s7, v0
	v_sub_u32_e32 v12, 0x3f1, v5
	v_or_b32_e32 v3, 0x1000, v0
	v_med3_i32 v12, v12, 0, 13
	v_lshrrev_b32_e32 v14, v12, v3
	v_lshlrev_b32_e32 v12, v12, v14
	v_mul_f16_sdwa v6, v40, v6 dst_sel:DWORD dst_unused:UNUSED_PAD src0_sel:WORD_1 src1_sel:DWORD
	v_cmp_ne_u32_e32 vcc, v12, v3
	v_fma_f16 v6, v40, v10, -v6
	v_cndmask_b32_e64 v3, 0, 1, vcc
	v_add_u32_e32 v12, 0xfffffc10, v5
	v_cvt_f32_f16_e32 v6, v6
	v_or_b32_e32 v3, v14, v3
	v_lshl_or_b32 v5, v12, 12, v0
	v_cmp_gt_i32_e32 vcc, 1, v12
	v_cndmask_b32_e32 v3, v5, v3, vcc
	v_and_b32_e32 v5, 7, v3
	v_cmp_lt_i32_e32 vcc, 5, v5
	v_cmp_eq_u32_e64 s[0:1], 3, v5
	v_cvt_f64_f32_e32 v[5:6], v6
	v_lshrrev_b32_e32 v3, 2, v3
	s_or_b64 vcc, s[0:1], vcc
	v_addc_co_u32_e32 v3, vcc, 0, v3, vcc
	v_mul_f64 v[5:6], v[5:6], s[2:3]
	v_cmp_gt_i32_e32 vcc, 31, v12
	v_cndmask_b32_e32 v3, v7, v3, vcc
	v_cmp_ne_u32_e32 vcc, 0, v0
	v_cndmask_b32_e64 v0, 0, 1, vcc
	v_lshl_or_b32 v0, v0, 9, v7
	v_cmp_eq_u32_e32 vcc, s10, v12
	v_cndmask_b32_e32 v0, v3, v0, vcc
	v_lshrrev_b32_e32 v3, 16, v4
	v_and_or_b32 v0, v3, s11, v0
	v_and_or_b32 v3, v6, s6, v5
	v_cmp_ne_u32_e32 vcc, 0, v3
	v_cndmask_b32_e64 v3, 0, 1, vcc
	v_lshrrev_b32_e32 v4, 8, v6
	v_bfe_u32 v5, v6, 20, 11
	v_and_or_b32 v3, v4, s7, v3
	v_sub_u32_e32 v10, 0x3f1, v5
	v_or_b32_e32 v4, 0x1000, v3
	v_med3_i32 v10, v10, 0, 13
	v_lshrrev_b32_e32 v12, v10, v4
	v_lshlrev_b32_e32 v10, v10, v12
	v_cmp_ne_u32_e32 vcc, v10, v4
	v_cndmask_b32_e64 v4, 0, 1, vcc
	v_add_u32_e32 v5, 0xfffffc10, v5
	v_or_b32_e32 v4, v12, v4
	v_lshl_or_b32 v10, v5, 12, v3
	v_cmp_gt_i32_e32 vcc, 1, v5
	v_cndmask_b32_e32 v4, v10, v4, vcc
	v_and_b32_e32 v10, 7, v4
	v_cmp_lt_i32_e32 vcc, 5, v10
	v_cmp_eq_u32_e64 s[0:1], 3, v10
	v_lshrrev_b32_e32 v10, 16, v11
	v_lshrrev_b32_e32 v4, 2, v4
	s_or_b64 vcc, s[0:1], vcc
	v_mul_f16_sdwa v12, v38, v10 dst_sel:DWORD dst_unused:UNUSED_PAD src0_sel:WORD_1 src1_sel:DWORD
	v_addc_co_u32_e32 v4, vcc, 0, v4, vcc
	v_fma_f16 v12, v38, v11, v12
	v_cmp_gt_i32_e32 vcc, 31, v5
	v_cvt_f32_f16_e32 v12, v12
	v_cndmask_b32_e32 v4, v7, v4, vcc
	v_cmp_ne_u32_e32 vcc, 0, v3
	v_cndmask_b32_e64 v3, 0, 1, vcc
	v_lshl_or_b32 v3, v3, 9, v7
	v_cmp_eq_u32_e32 vcc, s10, v5
	v_cndmask_b32_e32 v5, v4, v3, vcc
	v_cvt_f64_f32_e32 v[3:4], v12
	v_lshrrev_b32_e32 v6, 16, v6
	v_and_or_b32 v5, v6, s11, v5
	v_and_b32_e32 v0, 0xffff, v0
	v_mul_f64 v[3:4], v[3:4], s[2:3]
	v_lshl_or_b32 v0, v5, 16, v0
	v_mov_b32_e32 v6, s4
	v_add_co_u32_e32 v5, vcc, s5, v8
	v_addc_co_u32_e32 v6, vcc, v9, v6, vcc
	global_store_dword v[5:6], v0, off
	v_and_or_b32 v0, v4, s6, v3
	v_cmp_ne_u32_e32 vcc, 0, v0
	v_cndmask_b32_e64 v0, 0, 1, vcc
	v_lshrrev_b32_e32 v3, 8, v4
	v_bfe_u32 v8, v4, 20, 11
	v_and_or_b32 v0, v3, s7, v0
	v_sub_u32_e32 v9, 0x3f1, v8
	v_or_b32_e32 v3, 0x1000, v0
	v_med3_i32 v9, v9, 0, 13
	v_lshrrev_b32_e32 v12, v9, v3
	v_lshlrev_b32_e32 v9, v9, v12
	v_cmp_ne_u32_e32 vcc, v9, v3
	v_mul_f16_sdwa v9, v38, v11 dst_sel:DWORD dst_unused:UNUSED_PAD src0_sel:WORD_1 src1_sel:DWORD
	v_cndmask_b32_e64 v3, 0, 1, vcc
	v_fma_f16 v9, v38, v10, -v9
	v_or_b32_e32 v3, v12, v3
	v_add_u32_e32 v12, 0xfffffc10, v8
	v_cvt_f32_f16_e32 v9, v9
	v_lshl_or_b32 v8, v12, 12, v0
	v_cmp_gt_i32_e32 vcc, 1, v12
	v_cndmask_b32_e32 v3, v8, v3, vcc
	v_and_b32_e32 v8, 7, v3
	v_cmp_lt_i32_e32 vcc, 5, v8
	v_cmp_eq_u32_e64 s[0:1], 3, v8
	v_cvt_f64_f32_e32 v[8:9], v9
	v_lshrrev_b32_e32 v3, 2, v3
	s_or_b64 vcc, s[0:1], vcc
	v_addc_co_u32_e32 v3, vcc, 0, v3, vcc
	v_mul_f64 v[8:9], v[8:9], s[2:3]
	v_cmp_gt_i32_e32 vcc, 31, v12
	v_cndmask_b32_e32 v3, v7, v3, vcc
	v_cmp_ne_u32_e32 vcc, 0, v0
	v_cndmask_b32_e64 v0, 0, 1, vcc
	v_lshl_or_b32 v0, v0, 9, v7
	v_cmp_eq_u32_e32 vcc, s10, v12
	v_cndmask_b32_e32 v0, v3, v0, vcc
	v_lshrrev_b32_e32 v3, 16, v4
	v_and_or_b32 v0, v3, s11, v0
	v_and_or_b32 v3, v9, s6, v8
	v_cmp_ne_u32_e32 vcc, 0, v3
	v_cndmask_b32_e64 v3, 0, 1, vcc
	v_lshrrev_b32_e32 v4, 8, v9
	v_and_or_b32 v8, v4, s7, v3
	v_bfe_u32 v4, v9, 20, 11
	v_sub_u32_e32 v10, 0x3f1, v4
	v_or_b32_e32 v3, 0x1000, v8
	v_med3_i32 v10, v10, 0, 13
	v_lshrrev_b32_e32 v11, v10, v3
	v_lshlrev_b32_e32 v10, v10, v11
	v_cmp_ne_u32_e32 vcc, v10, v3
	v_cndmask_b32_e64 v3, 0, 1, vcc
	v_add_u32_e32 v10, 0xfffffc10, v4
	v_or_b32_e32 v3, v11, v3
	v_lshl_or_b32 v4, v10, 12, v8
	v_cmp_gt_i32_e32 vcc, 1, v10
	v_cndmask_b32_e32 v3, v4, v3, vcc
	v_and_b32_e32 v4, 7, v3
	v_cmp_lt_i32_e32 vcc, 5, v4
	v_cmp_eq_u32_e64 s[0:1], 3, v4
	v_lshrrev_b32_e32 v3, 2, v3
	s_or_b64 vcc, s[0:1], vcc
	v_addc_co_u32_e32 v11, vcc, 0, v3, vcc
	ds_read2st64_b32 v[3:4], v33 offset0:16 offset1:18
	v_cmp_gt_i32_e32 vcc, 31, v10
	v_cndmask_b32_e32 v11, v7, v11, vcc
	v_cmp_ne_u32_e32 vcc, 0, v8
	v_cndmask_b32_e64 v8, 0, 1, vcc
	s_waitcnt lgkmcnt(0)
	v_lshrrev_b32_e32 v12, 16, v3
	v_mul_f16_sdwa v14, v39, v12 dst_sel:DWORD dst_unused:UNUSED_PAD src0_sel:WORD_1 src1_sel:DWORD
	v_fma_f16 v14, v39, v3, v14
	v_cvt_f32_f16_e32 v14, v14
	v_lshl_or_b32 v8, v8, 9, v7
	v_cmp_eq_u32_e32 vcc, s10, v10
	v_cndmask_b32_e32 v8, v11, v8, vcc
	v_cvt_f64_f32_e32 v[10:11], v14
	v_lshrrev_b32_e32 v9, 16, v9
	v_and_or_b32 v14, v9, s11, v8
	v_and_b32_e32 v0, 0xffff, v0
	v_mul_f64 v[8:9], v[10:11], s[2:3]
	v_mov_b32_e32 v10, s9
	v_add_co_u32_e32 v5, vcc, s8, v5
	v_lshl_or_b32 v0, v14, 16, v0
	v_addc_co_u32_e32 v6, vcc, v6, v10, vcc
	global_store_dword v[5:6], v0, off
	v_and_or_b32 v0, v9, s6, v8
	v_cmp_ne_u32_e32 vcc, 0, v0
	v_cndmask_b32_e64 v0, 0, 1, vcc
	v_lshrrev_b32_e32 v8, 8, v9
	v_bfe_u32 v10, v9, 20, 11
	v_and_or_b32 v0, v8, s7, v0
	v_sub_u32_e32 v11, 0x3f1, v10
	v_or_b32_e32 v8, 0x1000, v0
	v_med3_i32 v11, v11, 0, 13
	v_lshrrev_b32_e32 v14, v11, v8
	v_lshlrev_b32_e32 v11, v11, v14
	v_cmp_ne_u32_e32 vcc, v11, v8
	v_mul_f16_sdwa v3, v39, v3 dst_sel:DWORD dst_unused:UNUSED_PAD src0_sel:WORD_1 src1_sel:DWORD
	v_cndmask_b32_e64 v8, 0, 1, vcc
	v_fma_f16 v3, v39, v12, -v3
	v_or_b32_e32 v8, v14, v8
	v_add_u32_e32 v14, 0xfffffc10, v10
	v_cvt_f32_f16_e32 v3, v3
	v_lshl_or_b32 v10, v14, 12, v0
	v_cmp_gt_i32_e32 vcc, 1, v14
	v_cndmask_b32_e32 v8, v10, v8, vcc
	v_and_b32_e32 v10, 7, v8
	v_cmp_lt_i32_e32 vcc, 5, v10
	v_cmp_eq_u32_e64 s[0:1], 3, v10
	v_cvt_f64_f32_e32 v[10:11], v3
	v_lshrrev_b32_e32 v8, 2, v8
	s_or_b64 vcc, s[0:1], vcc
	v_addc_co_u32_e32 v3, vcc, 0, v8, vcc
	v_mul_f64 v[10:11], v[10:11], s[2:3]
	v_cmp_gt_i32_e32 vcc, 31, v14
	v_cndmask_b32_e32 v3, v7, v3, vcc
	v_cmp_ne_u32_e32 vcc, 0, v0
	v_cndmask_b32_e64 v0, 0, 1, vcc
	v_lshl_or_b32 v0, v0, 9, v7
	v_cmp_eq_u32_e32 vcc, s10, v14
	v_cndmask_b32_e32 v0, v3, v0, vcc
	v_lshrrev_b32_e32 v3, 16, v9
	v_and_or_b32 v0, v3, s11, v0
	v_and_or_b32 v3, v11, s6, v10
	v_cmp_ne_u32_e32 vcc, 0, v3
	v_cndmask_b32_e64 v3, 0, 1, vcc
	v_lshrrev_b32_e32 v8, 8, v11
	v_bfe_u32 v9, v11, 20, 11
	v_and_or_b32 v3, v8, s7, v3
	v_sub_u32_e32 v10, 0x3f1, v9
	v_or_b32_e32 v8, 0x1000, v3
	v_med3_i32 v10, v10, 0, 13
	v_lshrrev_b32_e32 v12, v10, v8
	v_lshlrev_b32_e32 v10, v10, v12
	v_cmp_ne_u32_e32 vcc, v10, v8
	v_cndmask_b32_e64 v8, 0, 1, vcc
	v_add_u32_e32 v9, 0xfffffc10, v9
	v_or_b32_e32 v8, v12, v8
	v_lshl_or_b32 v10, v9, 12, v3
	v_cmp_gt_i32_e32 vcc, 1, v9
	v_cndmask_b32_e32 v8, v10, v8, vcc
	v_and_b32_e32 v10, 7, v8
	v_cmp_lt_i32_e32 vcc, 5, v10
	v_cmp_eq_u32_e64 s[0:1], 3, v10
	v_lshrrev_b32_e32 v10, 16, v13
	v_lshrrev_b32_e32 v8, 2, v8
	s_or_b64 vcc, s[0:1], vcc
	v_mul_f16_sdwa v12, v37, v10 dst_sel:DWORD dst_unused:UNUSED_PAD src0_sel:WORD_1 src1_sel:DWORD
	v_addc_co_u32_e32 v8, vcc, 0, v8, vcc
	v_fma_f16 v12, v37, v13, v12
	v_cmp_gt_i32_e32 vcc, 31, v9
	v_cvt_f32_f16_e32 v12, v12
	v_cndmask_b32_e32 v8, v7, v8, vcc
	v_cmp_ne_u32_e32 vcc, 0, v3
	v_cndmask_b32_e64 v3, 0, 1, vcc
	v_lshl_or_b32 v3, v3, 9, v7
	v_cmp_eq_u32_e32 vcc, s10, v9
	v_cndmask_b32_e32 v3, v8, v3, vcc
	v_cvt_f64_f32_e32 v[8:9], v12
	v_lshrrev_b32_e32 v11, 16, v11
	v_and_or_b32 v3, v11, s11, v3
	v_and_b32_e32 v0, 0xffff, v0
	v_mul_f64 v[8:9], v[8:9], s[2:3]
	v_lshl_or_b32 v0, v3, 16, v0
	v_mov_b32_e32 v3, s4
	v_add_co_u32_e32 v5, vcc, s5, v5
	v_addc_co_u32_e32 v6, vcc, v6, v3, vcc
	global_store_dword v[5:6], v0, off
	v_and_or_b32 v0, v9, s6, v8
	v_cmp_ne_u32_e32 vcc, 0, v0
	v_cndmask_b32_e64 v0, 0, 1, vcc
	v_lshrrev_b32_e32 v3, 8, v9
	v_bfe_u32 v8, v9, 20, 11
	v_and_or_b32 v0, v3, s7, v0
	v_sub_u32_e32 v11, 0x3f1, v8
	v_or_b32_e32 v3, 0x1000, v0
	v_med3_i32 v11, v11, 0, 13
	v_lshrrev_b32_e32 v12, v11, v3
	v_lshlrev_b32_e32 v11, v11, v12
	v_cmp_ne_u32_e32 vcc, v11, v3
	v_cndmask_b32_e64 v3, 0, 1, vcc
	v_or_b32_e32 v3, v12, v3
	v_mul_f16_sdwa v12, v37, v13 dst_sel:DWORD dst_unused:UNUSED_PAD src0_sel:WORD_1 src1_sel:DWORD
	v_fma_f16 v10, v37, v10, -v12
	v_add_u32_e32 v8, 0xfffffc10, v8
	v_cvt_f32_f16_e32 v10, v10
	v_lshl_or_b32 v11, v8, 12, v0
	v_cmp_gt_i32_e32 vcc, 1, v8
	v_cndmask_b32_e32 v3, v11, v3, vcc
	v_and_b32_e32 v11, 7, v3
	v_cmp_lt_i32_e32 vcc, 5, v11
	v_cmp_eq_u32_e64 s[0:1], 3, v11
	v_cvt_f64_f32_e32 v[10:11], v10
	v_lshrrev_b32_e32 v3, 2, v3
	s_or_b64 vcc, s[0:1], vcc
	v_addc_co_u32_e32 v3, vcc, 0, v3, vcc
	v_mul_f64 v[10:11], v[10:11], s[2:3]
	v_cmp_gt_i32_e32 vcc, 31, v8
	v_cndmask_b32_e32 v3, v7, v3, vcc
	v_cmp_ne_u32_e32 vcc, 0, v0
	v_cndmask_b32_e64 v0, 0, 1, vcc
	v_lshl_or_b32 v0, v0, 9, v7
	v_cmp_eq_u32_e32 vcc, s10, v8
	v_cndmask_b32_e32 v0, v3, v0, vcc
	v_lshrrev_b32_e32 v3, 16, v9
	v_and_or_b32 v0, v3, s11, v0
	v_and_or_b32 v3, v11, s6, v10
	v_cmp_ne_u32_e32 vcc, 0, v3
	v_cndmask_b32_e64 v3, 0, 1, vcc
	v_lshrrev_b32_e32 v8, 8, v11
	v_bfe_u32 v9, v11, 20, 11
	v_and_or_b32 v3, v8, s7, v3
	v_sub_u32_e32 v10, 0x3f1, v9
	v_or_b32_e32 v8, 0x1000, v3
	v_med3_i32 v10, v10, 0, 13
	v_lshrrev_b32_e32 v12, v10, v8
	v_lshlrev_b32_e32 v10, v10, v12
	v_cmp_ne_u32_e32 vcc, v10, v8
	v_cndmask_b32_e64 v8, 0, 1, vcc
	v_add_u32_e32 v10, 0xfffffc10, v9
	v_or_b32_e32 v8, v12, v8
	v_lshl_or_b32 v9, v10, 12, v3
	v_cmp_gt_i32_e32 vcc, 1, v10
	v_cndmask_b32_e32 v8, v9, v8, vcc
	v_and_b32_e32 v9, 7, v8
	v_cmp_lt_i32_e32 vcc, 5, v9
	v_cmp_eq_u32_e64 s[0:1], 3, v9
	v_lshrrev_b32_e32 v8, 2, v8
	s_or_b64 vcc, s[0:1], vcc
	v_addc_co_u32_e32 v12, vcc, 0, v8, vcc
	ds_read2st64_b32 v[8:9], v33 offset0:36 offset1:38
	v_cmp_gt_i32_e32 vcc, 31, v10
	v_cndmask_b32_e32 v12, v7, v12, vcc
	v_cmp_ne_u32_e32 vcc, 0, v3
	v_cndmask_b32_e64 v3, 0, 1, vcc
	s_waitcnt lgkmcnt(0)
	v_lshrrev_b32_e32 v14, 16, v8
	v_mul_f16_sdwa v13, v36, v14 dst_sel:DWORD dst_unused:UNUSED_PAD src0_sel:WORD_1 src1_sel:DWORD
	v_fma_f16 v13, v36, v8, v13
	v_cvt_f32_f16_e32 v13, v13
	v_lshl_or_b32 v3, v3, 9, v7
	v_cmp_eq_u32_e32 vcc, s10, v10
	v_cndmask_b32_e32 v3, v12, v3, vcc
	v_cvt_f64_f32_e32 v[12:13], v13
	v_lshrrev_b32_e32 v10, 16, v11
	v_and_or_b32 v3, v10, s11, v3
	v_and_b32_e32 v0, 0xffff, v0
	v_mul_f64 v[10:11], v[12:13], s[2:3]
	v_lshl_or_b32 v0, v3, 16, v0
	v_mov_b32_e32 v3, s4
	v_add_co_u32_e32 v5, vcc, s5, v5
	v_addc_co_u32_e32 v6, vcc, v6, v3, vcc
	global_store_dword v[5:6], v0, off
	v_and_or_b32 v0, v11, s6, v10
	v_cmp_ne_u32_e32 vcc, 0, v0
	v_cndmask_b32_e64 v0, 0, 1, vcc
	v_lshrrev_b32_e32 v3, 8, v11
	v_bfe_u32 v10, v11, 20, 11
	v_and_or_b32 v0, v3, s7, v0
	v_sub_u32_e32 v12, 0x3f1, v10
	v_or_b32_e32 v3, 0x1000, v0
	v_med3_i32 v12, v12, 0, 13
	v_lshrrev_b32_e32 v13, v12, v3
	v_lshlrev_b32_e32 v12, v12, v13
	v_mul_f16_sdwa v8, v36, v8 dst_sel:DWORD dst_unused:UNUSED_PAD src0_sel:WORD_1 src1_sel:DWORD
	v_cmp_ne_u32_e32 vcc, v12, v3
	v_fma_f16 v8, v36, v14, -v8
	v_cndmask_b32_e64 v3, 0, 1, vcc
	v_add_u32_e32 v10, 0xfffffc10, v10
	v_cvt_f32_f16_e32 v8, v8
	v_or_b32_e32 v3, v13, v3
	v_lshl_or_b32 v12, v10, 12, v0
	v_cmp_gt_i32_e32 vcc, 1, v10
	v_cndmask_b32_e32 v3, v12, v3, vcc
	v_and_b32_e32 v12, 7, v3
	v_cmp_lt_i32_e32 vcc, 5, v12
	v_cmp_eq_u32_e64 s[0:1], 3, v12
	v_cvt_f64_f32_e32 v[12:13], v8
	v_lshrrev_b32_e32 v3, 2, v3
	s_or_b64 vcc, s[0:1], vcc
	v_addc_co_u32_e32 v3, vcc, 0, v3, vcc
	v_mul_f64 v[12:13], v[12:13], s[2:3]
	v_cmp_gt_i32_e32 vcc, 31, v10
	v_cndmask_b32_e32 v3, v7, v3, vcc
	v_cmp_ne_u32_e32 vcc, 0, v0
	v_cndmask_b32_e64 v0, 0, 1, vcc
	v_lshl_or_b32 v0, v0, 9, v7
	v_cmp_eq_u32_e32 vcc, s10, v10
	v_cndmask_b32_e32 v0, v3, v0, vcc
	v_lshrrev_b32_e32 v3, 16, v11
	v_and_or_b32 v0, v3, s11, v0
	v_and_or_b32 v3, v13, s6, v12
	v_cmp_ne_u32_e32 vcc, 0, v3
	v_cndmask_b32_e64 v3, 0, 1, vcc
	v_lshrrev_b32_e32 v8, 8, v13
	v_bfe_u32 v10, v13, 20, 11
	v_and_or_b32 v3, v8, s7, v3
	v_sub_u32_e32 v11, 0x3f1, v10
	v_or_b32_e32 v8, 0x1000, v3
	v_med3_i32 v11, v11, 0, 13
	v_lshrrev_b32_e32 v12, v11, v8
	v_lshlrev_b32_e32 v11, v11, v12
	v_cmp_ne_u32_e32 vcc, v11, v8
	v_cndmask_b32_e64 v8, 0, 1, vcc
	v_add_u32_e32 v10, 0xfffffc10, v10
	v_or_b32_e32 v8, v12, v8
	v_lshl_or_b32 v11, v10, 12, v3
	v_cmp_gt_i32_e32 vcc, 1, v10
	v_cndmask_b32_e32 v8, v11, v8, vcc
	v_and_b32_e32 v11, 7, v8
	v_lshrrev_b32_e32 v12, 16, v1
	v_cmp_lt_i32_e32 vcc, 5, v11
	v_cmp_eq_u32_e64 s[0:1], 3, v11
	v_mul_f16_sdwa v11, v34, v12 dst_sel:DWORD dst_unused:UNUSED_PAD src0_sel:WORD_1 src1_sel:DWORD
	v_fma_f16 v11, v34, v1, v11
	v_lshrrev_b32_e32 v8, 2, v8
	s_or_b64 vcc, s[0:1], vcc
	v_cvt_f32_f16_e32 v11, v11
	v_addc_co_u32_e32 v8, vcc, 0, v8, vcc
	v_cmp_gt_i32_e32 vcc, 31, v10
	v_cndmask_b32_e32 v8, v7, v8, vcc
	v_cmp_ne_u32_e32 vcc, 0, v3
	v_cndmask_b32_e64 v3, 0, 1, vcc
	v_cmp_eq_u32_e32 vcc, s10, v10
	v_cvt_f64_f32_e32 v[10:11], v11
	v_lshl_or_b32 v3, v3, 9, v7
	v_cndmask_b32_e32 v3, v8, v3, vcc
	v_lshrrev_b32_e32 v8, 16, v13
	v_mul_f64 v[10:11], v[10:11], s[2:3]
	v_and_or_b32 v3, v8, s11, v3
	v_and_b32_e32 v0, 0xffff, v0
	v_lshl_or_b32 v0, v3, 16, v0
	v_mov_b32_e32 v3, s4
	v_add_co_u32_e32 v5, vcc, s5, v5
	v_addc_co_u32_e32 v6, vcc, v6, v3, vcc
	global_store_dword v[5:6], v0, off
	v_and_or_b32 v0, v11, s6, v10
	v_cmp_ne_u32_e32 vcc, 0, v0
	v_cndmask_b32_e64 v0, 0, 1, vcc
	v_lshrrev_b32_e32 v3, 8, v11
	v_bfe_u32 v8, v11, 20, 11
	v_and_or_b32 v3, v3, s7, v0
	v_sub_u32_e32 v10, 0x3f1, v8
	v_or_b32_e32 v0, 0x1000, v3
	v_med3_i32 v10, v10, 0, 13
	v_lshrrev_b32_e32 v13, v10, v0
	v_lshlrev_b32_e32 v10, v10, v13
	v_mul_f16_sdwa v1, v34, v1 dst_sel:DWORD dst_unused:UNUSED_PAD src0_sel:WORD_1 src1_sel:DWORD
	v_cmp_ne_u32_e32 vcc, v10, v0
	v_fma_f16 v1, v34, v12, -v1
	v_cndmask_b32_e64 v0, 0, 1, vcc
	v_add_u32_e32 v8, 0xfffffc10, v8
	v_cvt_f32_f16_e32 v1, v1
	v_or_b32_e32 v0, v13, v0
	v_lshl_or_b32 v10, v8, 12, v3
	v_cmp_gt_i32_e32 vcc, 1, v8
	v_cndmask_b32_e32 v0, v10, v0, vcc
	v_and_b32_e32 v10, 7, v0
	v_cmp_lt_i32_e32 vcc, 5, v10
	v_cmp_eq_u32_e64 s[0:1], 3, v10
	v_lshrrev_b32_e32 v10, 2, v0
	v_cvt_f64_f32_e32 v[0:1], v1
	s_or_b64 vcc, s[0:1], vcc
	v_addc_co_u32_e32 v10, vcc, 0, v10, vcc
	v_mul_f64 v[0:1], v[0:1], s[2:3]
	v_cmp_gt_i32_e32 vcc, 31, v8
	v_cndmask_b32_e32 v10, v7, v10, vcc
	v_cmp_ne_u32_e32 vcc, 0, v3
	v_cndmask_b32_e64 v3, 0, 1, vcc
	v_lshl_or_b32 v3, v3, 9, v7
	v_cmp_eq_u32_e32 vcc, s10, v8
	v_cndmask_b32_e32 v3, v10, v3, vcc
	v_and_or_b32 v0, v1, s6, v0
	v_lshrrev_b32_e32 v8, 16, v11
	v_cmp_ne_u32_e32 vcc, 0, v0
	v_and_or_b32 v3, v8, s11, v3
	v_cndmask_b32_e64 v0, 0, 1, vcc
	v_lshrrev_b32_e32 v8, 8, v1
	v_bfe_u32 v10, v1, 20, 11
	v_and_or_b32 v0, v8, s7, v0
	v_sub_u32_e32 v11, 0x3f1, v10
	v_or_b32_e32 v8, 0x1000, v0
	v_med3_i32 v11, v11, 0, 13
	v_lshrrev_b32_e32 v12, v11, v8
	v_lshlrev_b32_e32 v11, v11, v12
	v_cmp_ne_u32_e32 vcc, v11, v8
	v_cndmask_b32_e64 v8, 0, 1, vcc
	v_add_u32_e32 v10, 0xfffffc10, v10
	v_or_b32_e32 v8, v12, v8
	v_lshl_or_b32 v11, v10, 12, v0
	v_cmp_gt_i32_e32 vcc, 1, v10
	v_cndmask_b32_e32 v8, v11, v8, vcc
	v_and_b32_e32 v11, 7, v8
	v_lshrrev_b32_e32 v12, 16, v4
	v_cmp_lt_i32_e32 vcc, 5, v11
	v_cmp_eq_u32_e64 s[0:1], 3, v11
	v_mul_f16_sdwa v11, v35, v12 dst_sel:DWORD dst_unused:UNUSED_PAD src0_sel:WORD_1 src1_sel:DWORD
	v_fma_f16 v11, v35, v4, v11
	v_lshrrev_b32_e32 v8, 2, v8
	s_or_b64 vcc, s[0:1], vcc
	v_cvt_f32_f16_e32 v11, v11
	v_addc_co_u32_e32 v8, vcc, 0, v8, vcc
	v_cmp_gt_i32_e32 vcc, 31, v10
	v_cndmask_b32_e32 v8, v7, v8, vcc
	v_cmp_ne_u32_e32 vcc, 0, v0
	v_cndmask_b32_e64 v0, 0, 1, vcc
	v_cmp_eq_u32_e32 vcc, s10, v10
	v_cvt_f64_f32_e32 v[10:11], v11
	v_lshl_or_b32 v0, v0, 9, v7
	v_cndmask_b32_e32 v0, v8, v0, vcc
	v_lshrrev_b32_e32 v1, 16, v1
	v_and_or_b32 v8, v1, s11, v0
	v_mul_f64 v[0:1], v[10:11], s[2:3]
	v_and_b32_e32 v3, 0xffff, v3
	v_lshl_or_b32 v3, v8, 16, v3
	v_mov_b32_e32 v8, s9
	v_add_co_u32_e32 v5, vcc, s8, v5
	v_addc_co_u32_e32 v6, vcc, v6, v8, vcc
	v_and_or_b32 v0, v1, s6, v0
	v_cmp_ne_u32_e32 vcc, 0, v0
	global_store_dword v[5:6], v3, off
	v_cndmask_b32_e64 v0, 0, 1, vcc
	v_lshrrev_b32_e32 v3, 8, v1
	v_bfe_u32 v8, v1, 20, 11
	v_and_or_b32 v0, v3, s7, v0
	v_sub_u32_e32 v10, 0x3f1, v8
	v_or_b32_e32 v3, 0x1000, v0
	v_med3_i32 v10, v10, 0, 13
	v_lshrrev_b32_e32 v11, v10, v3
	v_lshlrev_b32_e32 v10, v10, v11
	v_mul_f16_sdwa v4, v35, v4 dst_sel:DWORD dst_unused:UNUSED_PAD src0_sel:WORD_1 src1_sel:DWORD
	v_cmp_ne_u32_e32 vcc, v10, v3
	v_fma_f16 v4, v35, v12, -v4
	v_cndmask_b32_e64 v3, 0, 1, vcc
	v_add_u32_e32 v8, 0xfffffc10, v8
	v_cvt_f32_f16_e32 v4, v4
	v_or_b32_e32 v3, v11, v3
	v_lshl_or_b32 v10, v8, 12, v0
	v_cmp_gt_i32_e32 vcc, 1, v8
	v_cndmask_b32_e32 v3, v10, v3, vcc
	v_and_b32_e32 v10, 7, v3
	v_cmp_lt_i32_e32 vcc, 5, v10
	v_cmp_eq_u32_e64 s[0:1], 3, v10
	v_lshrrev_b32_e32 v10, 2, v3
	v_cvt_f64_f32_e32 v[3:4], v4
	s_or_b64 vcc, s[0:1], vcc
	v_addc_co_u32_e32 v10, vcc, 0, v10, vcc
	v_mul_f64 v[3:4], v[3:4], s[2:3]
	v_cmp_gt_i32_e32 vcc, 31, v8
	v_cndmask_b32_e32 v10, v7, v10, vcc
	v_cmp_ne_u32_e32 vcc, 0, v0
	v_cndmask_b32_e64 v0, 0, 1, vcc
	v_lshl_or_b32 v0, v0, 9, v7
	v_cmp_eq_u32_e32 vcc, s10, v8
	v_cndmask_b32_e32 v0, v10, v0, vcc
	v_lshrrev_b32_e32 v1, 16, v1
	v_and_or_b32 v8, v1, s11, v0
	v_and_or_b32 v0, v4, s6, v3
	v_cmp_ne_u32_e32 vcc, 0, v0
	v_cndmask_b32_e64 v0, 0, 1, vcc
	v_lshrrev_b32_e32 v1, 8, v4
	v_bfe_u32 v3, v4, 20, 11
	v_and_or_b32 v0, v1, s7, v0
	v_sub_u32_e32 v10, 0x3f1, v3
	v_or_b32_e32 v1, 0x1000, v0
	v_med3_i32 v10, v10, 0, 13
	v_lshrrev_b32_e32 v11, v10, v1
	v_lshlrev_b32_e32 v10, v10, v11
	v_cmp_ne_u32_e32 vcc, v10, v1
	v_cndmask_b32_e64 v1, 0, 1, vcc
	v_add_u32_e32 v3, 0xfffffc10, v3
	v_or_b32_e32 v1, v11, v1
	v_lshl_or_b32 v10, v3, 12, v0
	v_cmp_gt_i32_e32 vcc, 1, v3
	v_cndmask_b32_e32 v1, v10, v1, vcc
	v_and_b32_e32 v10, 7, v1
	v_cmp_lt_i32_e32 vcc, 5, v10
	v_cmp_eq_u32_e64 s[0:1], 3, v10
	v_lshrrev_b32_e32 v10, 16, v2
	v_lshrrev_b32_e32 v1, 2, v1
	s_or_b64 vcc, s[0:1], vcc
	v_mul_f16_sdwa v11, v32, v10 dst_sel:DWORD dst_unused:UNUSED_PAD src0_sel:WORD_1 src1_sel:DWORD
	v_addc_co_u32_e32 v1, vcc, 0, v1, vcc
	v_fma_f16 v11, v32, v2, v11
	v_cmp_gt_i32_e32 vcc, 31, v3
	v_cvt_f32_f16_e32 v11, v11
	v_cndmask_b32_e32 v1, v7, v1, vcc
	v_cmp_ne_u32_e32 vcc, 0, v0
	v_cndmask_b32_e64 v0, 0, 1, vcc
	v_lshl_or_b32 v0, v0, 9, v7
	v_cmp_eq_u32_e32 vcc, s10, v3
	v_cndmask_b32_e32 v3, v1, v0, vcc
	v_cvt_f64_f32_e32 v[0:1], v11
	v_lshrrev_b32_e32 v4, 16, v4
	v_and_or_b32 v3, v4, s11, v3
	v_and_b32_e32 v4, 0xffff, v8
	v_mul_f64 v[0:1], v[0:1], s[2:3]
	v_lshl_or_b32 v8, v3, 16, v4
	v_mov_b32_e32 v4, s4
	v_add_co_u32_e32 v3, vcc, s5, v5
	v_addc_co_u32_e32 v4, vcc, v6, v4, vcc
	global_store_dword v[3:4], v8, off
	v_and_or_b32 v0, v1, s6, v0
	v_cmp_ne_u32_e32 vcc, 0, v0
	v_cndmask_b32_e64 v0, 0, 1, vcc
	v_lshrrev_b32_e32 v5, 8, v1
	v_bfe_u32 v6, v1, 20, 11
	v_and_or_b32 v0, v5, s7, v0
	v_sub_u32_e32 v8, 0x3f1, v6
	v_or_b32_e32 v5, 0x1000, v0
	v_med3_i32 v8, v8, 0, 13
	v_lshrrev_b32_e32 v11, v8, v5
	v_lshlrev_b32_e32 v8, v8, v11
	v_mul_f16_sdwa v2, v32, v2 dst_sel:DWORD dst_unused:UNUSED_PAD src0_sel:WORD_1 src1_sel:DWORD
	v_cmp_ne_u32_e32 vcc, v8, v5
	v_fma_f16 v2, v32, v10, -v2
	v_cndmask_b32_e64 v5, 0, 1, vcc
	v_add_u32_e32 v8, 0xfffffc10, v6
	v_cvt_f32_f16_e32 v2, v2
	v_or_b32_e32 v5, v11, v5
	v_lshl_or_b32 v6, v8, 12, v0
	v_cmp_gt_i32_e32 vcc, 1, v8
	v_cndmask_b32_e32 v5, v6, v5, vcc
	v_and_b32_e32 v6, 7, v5
	v_cmp_lt_i32_e32 vcc, 5, v6
	v_cmp_eq_u32_e64 s[0:1], 3, v6
	v_lshrrev_b32_e32 v10, 2, v5
	v_cvt_f64_f32_e32 v[5:6], v2
	s_or_b64 vcc, s[0:1], vcc
	v_addc_co_u32_e32 v2, vcc, 0, v10, vcc
	v_mul_f64 v[5:6], v[5:6], s[2:3]
	v_cmp_gt_i32_e32 vcc, 31, v8
	v_cndmask_b32_e32 v2, v7, v2, vcc
	v_cmp_ne_u32_e32 vcc, 0, v0
	v_cndmask_b32_e64 v0, 0, 1, vcc
	v_lshl_or_b32 v0, v0, 9, v7
	v_cmp_eq_u32_e32 vcc, s10, v8
	v_cndmask_b32_e32 v0, v2, v0, vcc
	v_lshrrev_b32_e32 v1, 16, v1
	v_and_or_b32 v2, v1, s11, v0
	v_and_or_b32 v0, v6, s6, v5
	v_cmp_ne_u32_e32 vcc, 0, v0
	v_cndmask_b32_e64 v0, 0, 1, vcc
	v_lshrrev_b32_e32 v1, 8, v6
	v_bfe_u32 v5, v6, 20, 11
	v_and_or_b32 v0, v1, s7, v0
	v_sub_u32_e32 v8, 0x3f1, v5
	v_or_b32_e32 v1, 0x1000, v0
	v_med3_i32 v8, v8, 0, 13
	v_lshrrev_b32_e32 v10, v8, v1
	v_lshlrev_b32_e32 v8, v8, v10
	v_cmp_ne_u32_e32 vcc, v8, v1
	v_cndmask_b32_e64 v1, 0, 1, vcc
	v_add_u32_e32 v5, 0xfffffc10, v5
	v_or_b32_e32 v1, v10, v1
	v_lshl_or_b32 v8, v5, 12, v0
	v_cmp_gt_i32_e32 vcc, 1, v5
	v_cndmask_b32_e32 v1, v8, v1, vcc
	v_and_b32_e32 v8, 7, v1
	v_cmp_lt_i32_e32 vcc, 5, v8
	v_cmp_eq_u32_e64 s[0:1], 3, v8
	v_lshrrev_b32_e32 v8, 16, v9
	v_lshrrev_b32_e32 v1, 2, v1
	s_or_b64 vcc, s[0:1], vcc
	v_mul_f16_sdwa v10, v31, v8 dst_sel:DWORD dst_unused:UNUSED_PAD src0_sel:WORD_1 src1_sel:DWORD
	v_addc_co_u32_e32 v1, vcc, 0, v1, vcc
	v_fma_f16 v10, v31, v9, v10
	v_cmp_gt_i32_e32 vcc, 31, v5
	v_cvt_f32_f16_e32 v10, v10
	v_cndmask_b32_e32 v1, v7, v1, vcc
	v_cmp_ne_u32_e32 vcc, 0, v0
	v_cndmask_b32_e64 v0, 0, 1, vcc
	v_lshl_or_b32 v0, v0, 9, v7
	v_cmp_eq_u32_e32 vcc, s10, v5
	v_cndmask_b32_e32 v5, v1, v0, vcc
	v_cvt_f64_f32_e32 v[0:1], v10
	v_lshrrev_b32_e32 v6, 16, v6
	v_and_or_b32 v5, v6, s11, v5
	v_and_b32_e32 v2, 0xffff, v2
	v_mul_f64 v[0:1], v[0:1], s[2:3]
	v_lshl_or_b32 v5, v5, 16, v2
	v_mov_b32_e32 v6, s4
	v_add_co_u32_e32 v2, vcc, s5, v3
	v_addc_co_u32_e32 v3, vcc, v4, v6, vcc
	global_store_dword v[2:3], v5, off
	v_and_or_b32 v0, v1, s6, v0
	v_cmp_ne_u32_e32 vcc, 0, v0
	v_cndmask_b32_e64 v0, 0, 1, vcc
	v_lshrrev_b32_e32 v4, 8, v1
	v_bfe_u32 v5, v1, 20, 11
	v_and_or_b32 v0, v4, s7, v0
	v_sub_u32_e32 v6, 0x3f1, v5
	v_or_b32_e32 v4, 0x1000, v0
	v_med3_i32 v6, v6, 0, 13
	v_lshrrev_b32_e32 v10, v6, v4
	v_lshlrev_b32_e32 v6, v6, v10
	v_mul_f16_sdwa v9, v31, v9 dst_sel:DWORD dst_unused:UNUSED_PAD src0_sel:WORD_1 src1_sel:DWORD
	v_cmp_ne_u32_e32 vcc, v6, v4
	v_fma_f16 v8, v31, v8, -v9
	v_cndmask_b32_e64 v4, 0, 1, vcc
	v_add_u32_e32 v6, 0xfffffc10, v5
	v_cvt_f32_f16_e32 v8, v8
	v_or_b32_e32 v4, v10, v4
	v_lshl_or_b32 v5, v6, 12, v0
	v_cmp_gt_i32_e32 vcc, 1, v6
	v_cndmask_b32_e32 v4, v5, v4, vcc
	v_and_b32_e32 v5, 7, v4
	v_cmp_lt_i32_e32 vcc, 5, v5
	v_cmp_eq_u32_e64 s[0:1], 3, v5
	v_lshrrev_b32_e32 v9, 2, v4
	v_cvt_f64_f32_e32 v[4:5], v8
	s_or_b64 vcc, s[0:1], vcc
	v_addc_co_u32_e32 v8, vcc, 0, v9, vcc
	v_mul_f64 v[4:5], v[4:5], s[2:3]
	v_cmp_gt_i32_e32 vcc, 31, v6
	v_cndmask_b32_e32 v8, v7, v8, vcc
	v_cmp_ne_u32_e32 vcc, 0, v0
	v_cndmask_b32_e64 v0, 0, 1, vcc
	v_lshl_or_b32 v0, v0, 9, v7
	v_cmp_eq_u32_e32 vcc, s10, v6
	v_cndmask_b32_e32 v0, v8, v0, vcc
	v_lshrrev_b32_e32 v1, 16, v1
	v_and_or_b32 v0, v1, s11, v0
	v_and_or_b32 v1, v5, s6, v4
	v_cmp_ne_u32_e32 vcc, 0, v1
	v_cndmask_b32_e64 v1, 0, 1, vcc
	v_lshrrev_b32_e32 v4, 8, v5
	v_bfe_u32 v6, v5, 20, 11
	v_and_or_b32 v1, v4, s7, v1
	v_sub_u32_e32 v8, 0x3f1, v6
	v_or_b32_e32 v4, 0x1000, v1
	v_med3_i32 v8, v8, 0, 13
	v_lshrrev_b32_e32 v9, v8, v4
	v_lshlrev_b32_e32 v8, v8, v9
	v_cmp_ne_u32_e32 vcc, v8, v4
	v_cndmask_b32_e64 v4, 0, 1, vcc
	v_add_u32_e32 v6, 0xfffffc10, v6
	v_or_b32_e32 v4, v9, v4
	v_lshl_or_b32 v8, v6, 12, v1
	v_cmp_gt_i32_e32 vcc, 1, v6
	v_cndmask_b32_e32 v4, v8, v4, vcc
	v_and_b32_e32 v8, 7, v4
	v_cmp_lt_i32_e32 vcc, 5, v8
	v_cmp_eq_u32_e64 s[0:1], 3, v8
	v_lshrrev_b32_e32 v4, 2, v4
	s_or_b64 vcc, s[0:1], vcc
	v_addc_co_u32_e32 v4, vcc, 0, v4, vcc
	v_cmp_gt_i32_e32 vcc, 31, v6
	v_cndmask_b32_e32 v4, v7, v4, vcc
	v_cmp_ne_u32_e32 vcc, 0, v1
	v_cndmask_b32_e64 v1, 0, 1, vcc
	v_lshl_or_b32 v1, v1, 9, v7
	v_cmp_eq_u32_e32 vcc, s10, v6
	v_cndmask_b32_e32 v1, v4, v1, vcc
	v_lshrrev_b32_e32 v4, 16, v5
	v_and_or_b32 v1, v4, s11, v1
	v_and_b32_e32 v0, 0xffff, v0
	v_lshl_or_b32 v4, v1, 16, v0
	v_mov_b32_e32 v1, s4
	v_add_co_u32_e32 v0, vcc, s5, v2
	v_addc_co_u32_e32 v1, vcc, v3, v1, vcc
	global_store_dword v[0:1], v4, off
.LBB0_2:
	s_endpgm
	.section	.rodata,"a",@progbits
	.p2align	6, 0x0
	.amdhsa_kernel bluestein_single_back_len2560_dim1_half_op_CI_CI
		.amdhsa_group_segment_fixed_size 10240
		.amdhsa_private_segment_fixed_size 0
		.amdhsa_kernarg_size 104
		.amdhsa_user_sgpr_count 6
		.amdhsa_user_sgpr_private_segment_buffer 1
		.amdhsa_user_sgpr_dispatch_ptr 0
		.amdhsa_user_sgpr_queue_ptr 0
		.amdhsa_user_sgpr_kernarg_segment_ptr 1
		.amdhsa_user_sgpr_dispatch_id 0
		.amdhsa_user_sgpr_flat_scratch_init 0
		.amdhsa_user_sgpr_private_segment_size 0
		.amdhsa_uses_dynamic_stack 0
		.amdhsa_system_sgpr_private_segment_wavefront_offset 0
		.amdhsa_system_sgpr_workgroup_id_x 1
		.amdhsa_system_sgpr_workgroup_id_y 0
		.amdhsa_system_sgpr_workgroup_id_z 0
		.amdhsa_system_sgpr_workgroup_info 0
		.amdhsa_system_vgpr_workitem_id 0
		.amdhsa_next_free_vgpr 120
		.amdhsa_next_free_sgpr 20
		.amdhsa_reserve_vcc 1
		.amdhsa_reserve_flat_scratch 0
		.amdhsa_float_round_mode_32 0
		.amdhsa_float_round_mode_16_64 0
		.amdhsa_float_denorm_mode_32 3
		.amdhsa_float_denorm_mode_16_64 3
		.amdhsa_dx10_clamp 1
		.amdhsa_ieee_mode 1
		.amdhsa_fp16_overflow 0
		.amdhsa_exception_fp_ieee_invalid_op 0
		.amdhsa_exception_fp_denorm_src 0
		.amdhsa_exception_fp_ieee_div_zero 0
		.amdhsa_exception_fp_ieee_overflow 0
		.amdhsa_exception_fp_ieee_underflow 0
		.amdhsa_exception_fp_ieee_inexact 0
		.amdhsa_exception_int_div_zero 0
	.end_amdhsa_kernel
	.text
.Lfunc_end0:
	.size	bluestein_single_back_len2560_dim1_half_op_CI_CI, .Lfunc_end0-bluestein_single_back_len2560_dim1_half_op_CI_CI
                                        ; -- End function
	.section	.AMDGPU.csdata,"",@progbits
; Kernel info:
; codeLenInByte = 28884
; NumSgprs: 24
; NumVgprs: 120
; ScratchSize: 0
; MemoryBound: 0
; FloatMode: 240
; IeeeMode: 1
; LDSByteSize: 10240 bytes/workgroup (compile time only)
; SGPRBlocks: 2
; VGPRBlocks: 29
; NumSGPRsForWavesPerEU: 24
; NumVGPRsForWavesPerEU: 120
; Occupancy: 2
; WaveLimiterHint : 1
; COMPUTE_PGM_RSRC2:SCRATCH_EN: 0
; COMPUTE_PGM_RSRC2:USER_SGPR: 6
; COMPUTE_PGM_RSRC2:TRAP_HANDLER: 0
; COMPUTE_PGM_RSRC2:TGID_X_EN: 1
; COMPUTE_PGM_RSRC2:TGID_Y_EN: 0
; COMPUTE_PGM_RSRC2:TGID_Z_EN: 0
; COMPUTE_PGM_RSRC2:TIDIG_COMP_CNT: 0
	.type	__hip_cuid_dc378f77d1f78b01,@object ; @__hip_cuid_dc378f77d1f78b01
	.section	.bss,"aw",@nobits
	.globl	__hip_cuid_dc378f77d1f78b01
__hip_cuid_dc378f77d1f78b01:
	.byte	0                               ; 0x0
	.size	__hip_cuid_dc378f77d1f78b01, 1

	.ident	"AMD clang version 19.0.0git (https://github.com/RadeonOpenCompute/llvm-project roc-6.4.0 25133 c7fe45cf4b819c5991fe208aaa96edf142730f1d)"
	.section	".note.GNU-stack","",@progbits
	.addrsig
	.addrsig_sym __hip_cuid_dc378f77d1f78b01
	.amdgpu_metadata
---
amdhsa.kernels:
  - .args:
      - .actual_access:  read_only
        .address_space:  global
        .offset:         0
        .size:           8
        .value_kind:     global_buffer
      - .actual_access:  read_only
        .address_space:  global
        .offset:         8
        .size:           8
        .value_kind:     global_buffer
      - .actual_access:  read_only
        .address_space:  global
        .offset:         16
        .size:           8
        .value_kind:     global_buffer
      - .actual_access:  read_only
        .address_space:  global
        .offset:         24
        .size:           8
        .value_kind:     global_buffer
      - .actual_access:  read_only
        .address_space:  global
        .offset:         32
        .size:           8
        .value_kind:     global_buffer
      - .offset:         40
        .size:           8
        .value_kind:     by_value
      - .address_space:  global
        .offset:         48
        .size:           8
        .value_kind:     global_buffer
      - .address_space:  global
        .offset:         56
        .size:           8
        .value_kind:     global_buffer
      - .address_space:  global
        .offset:         64
        .size:           8
        .value_kind:     global_buffer
      - .address_space:  global
        .offset:         72
        .size:           8
        .value_kind:     global_buffer
      - .offset:         80
        .size:           4
        .value_kind:     by_value
      - .address_space:  global
        .offset:         88
        .size:           8
        .value_kind:     global_buffer
      - .address_space:  global
        .offset:         96
        .size:           8
        .value_kind:     global_buffer
    .group_segment_fixed_size: 10240
    .kernarg_segment_align: 8
    .kernarg_segment_size: 104
    .language:       OpenCL C
    .language_version:
      - 2
      - 0
    .max_flat_workgroup_size: 128
    .name:           bluestein_single_back_len2560_dim1_half_op_CI_CI
    .private_segment_fixed_size: 0
    .sgpr_count:     24
    .sgpr_spill_count: 0
    .symbol:         bluestein_single_back_len2560_dim1_half_op_CI_CI.kd
    .uniform_work_group_size: 1
    .uses_dynamic_stack: false
    .vgpr_count:     120
    .vgpr_spill_count: 0
    .wavefront_size: 64
amdhsa.target:   amdgcn-amd-amdhsa--gfx906
amdhsa.version:
  - 1
  - 2
...

	.end_amdgpu_metadata
